;; amdgpu-corpus repo=ROCm/hipBLASLt kind=harvested arch=n/a opt=n/a

/******************************************/
/* Begin Kernel                           */
/******************************************/
.amdgcn_target "amdgcn-amd-amdhsa--gfx942"
.text
.protected Custom_Cijk_Ailk_Bljk_F8NH_HSS_BH_Bias_GG_AS_SAB_SAV_UserArgs_shortname13_gfx942
.globl Custom_Cijk_Ailk_Bljk_F8NH_HSS_BH_Bias_GG_AS_SAB_SAV_UserArgs_shortname13_gfx942
.p2align 8
.type Custom_Cijk_Ailk_Bljk_F8NH_HSS_BH_Bias_GG_AS_SAB_SAV_UserArgs_shortname13_gfx942,@function
.section .rodata,#alloc
.p2align 6
.amdhsa_kernel Custom_Cijk_Ailk_Bljk_F8NH_HSS_BH_Bias_GG_AS_SAB_SAV_UserArgs_shortname13_gfx942
  .amdhsa_user_sgpr_kernarg_segment_ptr 1
  .amdhsa_accum_offset 256 // accvgpr offset
  .amdhsa_next_free_vgpr 512 // vgprs
  .amdhsa_next_free_sgpr 102 // sgprs
  .amdhsa_group_segment_fixed_size 34816 // lds bytes
  .amdhsa_private_segment_fixed_size 0
  .amdhsa_system_sgpr_workgroup_id_x 1
  .amdhsa_system_sgpr_workgroup_id_y 1
  .amdhsa_system_sgpr_workgroup_id_z 1
  .amdhsa_system_vgpr_workitem_id 0
  .amdhsa_float_denorm_mode_32 3
  .amdhsa_float_denorm_mode_16_64 3
  .amdhsa_user_sgpr_count 13
  .amdhsa_user_sgpr_kernarg_preload_length 11
  .amdhsa_user_sgpr_kernarg_preload_offset 0
.end_amdhsa_kernel
.text
/* Num VGPR   =256 */
/* Num AccVGPR=256 */
/* Num SGPR   =98 */

/******************************************/
/* Optimizations and Config:              */
/******************************************/
/* ThreadTile= 16 x 16 */
/* SubGroup= 16 x 16 */
/* VectorWidthA=4 */
/* VectorWidthB=1 */
/* GlobalReadVectorWidthA=4, GlobalReadVectorWidthB=4 */
/* DirectToLdsA=False */
/* DirectToLdsB=False */
/* UseSgprForGRO=1 */
.amdgpu_metadata
---
custom.config:
   ProblemType:
      OperationType: GEMM
      DataTypeA: f8n
      DataTypeB: h
      UseScaleAB: "Scalar"
      DataType: h
      DestDataType: s
      ComputeDataType: s
      HighPrecisionAccumulate: True
      TransposeA: False
      TransposeB: False
      UseBias: 1
      Activation: True
      UseScaleAlphaVec: 1
      UseBeta: True
      Batched: True
      GroupedGemm:   True
      SupportUserArgs: True
   EnableF32XdlMathOp: False
   EnableMatrixInstruction: True
   MFMA_BF16_1K: False
   MIBlock: [16, 16, 16, 1, 1, 1]
   MIInputPerThread: 4
   MIInputPerThreadA: 4
   MIInputPerThreadB: 4
   MIInputPerThreadMetadata: 4
   MIWaveGroup: [4, 1]
   MIWaveTile: [4, 16]
   MatrixInstB: 1
   MatrixInstBM: 1
   MatrixInstBN: 1
   MatrixInstK: 16
   MatrixInstM: 16
   MatrixInstN: 16
   MatrixInstruction: [16, 16, 16, 1]
   Sparse: 0
   ThreadTile: [1, 1]
   WavefrontSize: 64
   WorkGroup: [64, 4, 1]
   1LDSBuffer: 1
   ScheduleIterAlg: 3
   DepthU: 64
   StaggerU: 0
   WorkGroupMapping: 1
   WaveSeparateGlobalReadA: 1
   WaveSeparateGlobalReadB: 1
   GlobalReadVectorWidthA: 4
   GlobalReadVectorWidthB: 4
   AssertFree0ElementMultiple: 4
   AssertSummationElementMultiple: 128
   NoReject: 1
   InternalSupportParams:
      KernArgsVersion: 0
      SupportUserGSU: False
      SupportCustomWGM: False
      SupportCustomStaggerU: False
      UseUniversalArgs: False
amdhsa.version:
  - 1
  - 1
amdhsa.kernels:
  - .name: Custom_Cijk_Ailk_Bljk_F8NH_HSS_BH_Bias_GG_AS_SAB_SAV_UserArgs_shortname13_gfx942
    .symbol: 'Custom_Cijk_Ailk_Bljk_F8NH_HSS_BH_Bias_GG_AS_SAB_SAV_UserArgs_shortname13_gfx942.kd'
    .language:                   OpenCL C
    .language_version:
      - 2
      - 0
    .args:
      - .name:            SizesFree0
        .size:            4
        .offset:          0
        .value_kind:      by_value
        .value_type:      u32
      - .name:            SizesFree1
        .size:            4
        .offset:          4
        .value_kind:      by_value
        .value_type:      u32
      - .name:            SizesFree2
        .size:            4
        .offset:          8
        .value_kind:      by_value
        .value_type:      u32
      - .name:            SizesSum0
        .size:            4
        .offset:          12
        .value_kind:      by_value
        .value_type:      u32
      - .name:            D
        .size:            8
        .offset:          16
        .value_kind:      global_buffer
        .value_type:      f32
        .address_space:   generic
      - .name:            C
        .size:            8
        .offset:          24
        .value_kind:      global_buffer
        .value_type:      f32
        .address_space:   generic
      - .name:            A
        .size:            8
        .offset:          32
        .value_kind:      global_buffer
        .value_type:      f16
        .address_space:   generic
      - .name:            B
        .size:            8
        .offset:          40
        .value_kind:      global_buffer
        .value_type:      f16
        .address_space:   generic
      - .name:            strideD0
        .size:            4
        .offset:          48
        .value_kind:      by_value
        .value_type:      u32
      - .name:            strideD1
        .size:            4
        .offset:          52
        .value_kind:      by_value
        .value_type:      u32
      - .name:            strideC0
        .size:            4
        .offset:          56
        .value_kind:      by_value
        .value_type:      u32
      - .name:            strideC1
        .size:            4
        .offset:          60
        .value_kind:      by_value
        .value_type:      u32
      - .name:            strideA0
        .size:            4
        .offset:          64
        .value_kind:      by_value
        .value_type:      u32
      - .name:            strideA1
        .size:            4
        .offset:          68
        .value_kind:      by_value
        .value_type:      u32
      - .name:            strideB0
        .size:            4
        .offset:          72
        .value_kind:      by_value
        .value_type:      u32
      - .name:            strideB1
        .size:            4
        .offset:          76
        .value_kind:      by_value
        .value_type:      u32
      - .name:            alpha
        .size:            4
        .offset:          80
        .value_kind:      by_value
        .value_type:      f32
      - .name:            beta
        .size:            4
        .offset:          84
        .value_kind:      by_value
        .value_type:      f32
      - .name:            AddressScaleA
        .size:            8
        .offset:          88
        .value_kind:      global_buffer
        .value_type:      f32
        .address_space:   generic
      - .name:            AddressScaleB
        .size:            8
        .offset:          96
        .value_kind:      global_buffer
        .value_type:      f32
        .address_space:   generic
      - .name:            AddressScaleAlphaVec
        .size:            8
        .offset:          104
        .value_kind:      global_buffer
        .value_type:      f32
        .address_space:   generic
      - .name:            bias
        .size:            8
        .offset:          112
        .value_kind:      global_buffer
        .value_type:      void
        .address_space:   generic
      - .name:            biasType
        .size:            4
        .offset:          120
        .value_kind:      by_value
        .value_type:      u32
      - .name:            StrideBias
        .size:            4
        .offset:          124
        .value_kind:      by_value
        .value_type:      u32
      - .name:            activationAlpha
        .size:            4
        .offset:          128
        .value_kind:      by_value
        .value_type:      f32
      - .name:            activationBeta
        .size:            4
        .offset:          132
        .value_kind:      by_value
        .value_type:      f32
      - .name:            activationType
        .size:            4
        .offset:          136
        .value_kind:      by_value
        .value_type:      u32
    .group_segment_fixed_size:   34816
    .kernarg_segment_align:      8
    .kernarg_segment_size:       144
    .max_flat_workgroup_size:    256
    .private_segment_fixed_size: 0
    .sgpr_count:                 98
    .sgpr_spill_count:           0
    .vgpr_count:                 256
    .vgpr_spill_count:           0
    .wavefront_size:             64
...
.end_amdgpu_metadata
Custom_Cijk_Ailk_Bljk_F8NH_HSS_BH_Bias_GG_AS_SAB_SAV_UserArgs_shortname13_gfx942:
.long 0xC00206C0, 0x00000000
.long 0xC0020B80, 0x00000018
.long 0xC0060180, 0x00000004
.long 0xC0060000, 0x0000000C
.long 0xBF8CC07F
.long 0xBF82003D
	;; [unrolled: 1-line block ×63, first 2 shown]
.long 0xBEBC00FF, 0x05040100
.long 0xBEBD00FF, 0x07060302
	;; [unrolled: 1-line block ×3, first 2 shown]
.long 0x7FC80300
.long 0xBE82000D
	;; [unrolled: 1-line block ×6, first 2 shown]
.long 0xBE9A00FF, 0x0000008C
.long 0x9216841B
.long 0xBE900100
.long 0xBF820004
.long 0xBE9A00FF, 0x000000C4
.long 0xBE960080
.long 0xBE900106
.long 0xBE980081
.long 0xBE970080
.long 0xC0080308, 0x00000016
.long 0xB41B0001
	;; [unrolled: 5-line block ×3, first 2 shown]
.long 0x8F15880D
.long 0x86120DFF, 0x000000FF
.long 0x82158015
.long 0x92141514
	;; [unrolled: 1-line block ×8, first 2 shown]
.long 0xC0080308, 0x00000016
.long 0x80188118
.long 0xBF0A1B18
	;; [unrolled: 1-line block ×5, first 2 shown]
.long 0x86120CFF, 0x000000FF
.long 0x82148014
.long 0x8F15880D
.long 0x86120DFF, 0x000000FF
.long 0x82158015
.long 0x92141514
	;; [unrolled: 1-line block ×12, first 2 shown]
.long 0x920BFF0B, 0x0000008C
.long 0x80000B00
.long 0x82018001
.long 0xC0120600, 0x00000000
.long 0xC00A0A00, 0x00000040
	;; [unrolled: 1-line block ×3, first 2 shown]
.long 0xBF82000C
.long 0x920BFF0B, 0x000000C4
.long 0x80060B06
.long 0x82078007
.long 0xC0120603, 0x00000000
.long 0xC00A0A03, 0x00000040
	;; [unrolled: 1-line block ×4, first 2 shown]
.long 0x2603C8BF
.long 0x2600028F
	;; [unrolled: 1-line block ×27, first 2 shown]
.long 0xBE8F00FF, 0x00000100
.long 0xD2850000, 0x0002000F
	;; [unrolled: 1-line block ×3, first 2 shown]
.long 0x2005CA87
.long 0x24040483
	;; [unrolled: 1-line block ×21, first 2 shown]
.long 0x114008FF, 0x00000100
.long 0xD1FE00A0, 0x02074100
.long 0x114204C0
.long 0xD1FE00A1, 0x02074305
.long 0x200D4287
.long 0x240C0C83
	;; [unrolled: 1-line block ×4, first 2 shown]
.long 0x7E1002FF, 0x00000100
.long 0x7E0E0218
.long 0x7E0C0D08
	;; [unrolled: 1-line block ×8, first 2 shown]
.long 0xD0CD006A, 0x00010109
.long 0xD11C6A06, 0x01A90106
	;; [unrolled: 1-line block ×3, first 2 shown]
.long 0x7E0E0219
.long 0x7E1A0506
	;; [unrolled: 1-line block ×9, first 2 shown]
.long 0xD0CD006A, 0x00010109
.long 0xD11C6A06, 0x01A90106
.long 0xBF800000
.long 0x7E1C0506
	;; [unrolled: 1-line block ×12, first 2 shown]
.long 0xD1080007, 0x0000B906
.long 0x6A0E0E02
.long 0xD0DA007E, 0x0000B907
.long 0x680C0C81
.long 0xBEFE01C1
	;; [unrolled: 1-line block ×13, first 2 shown]
.long 0xD1080007, 0x00001B06
.long 0x6A0E0E02
.long 0xD0DA007E, 0x00001B07
.long 0x680C0C81
.long 0xBEFE01C1
	;; [unrolled: 1-line block ×13, first 2 shown]
.long 0xD042006A, 0x0001002C
.long 0xBF860001
.long 0xBE9B0080
	;; [unrolled: 1-line block ×9, first 2 shown]
.long 0xD1080007, 0x00005D06
.long 0x6A0E0E03
.long 0xD0DA007E, 0x00005D07
.long 0x680C0C81
.long 0x7E0E0280
.long 0xBEFE01C1
.long 0x7E060506
.long 0x7E100507
.long 0xBE850082
.long 0xBE8A0082
.long 0xBF820003
.long 0xBE880180
.long 0xBE850082
.long 0xBE8A0082
.long 0x2603C8BF
.long 0x2600028F
.long 0x20020284
.long 0x26020280
.long 0x24020284
.long 0x68000101
.long 0x24000082
.long 0x2603C8BF
.long 0x20020284
.long 0xD2850001, 0x00020284
.long 0xD2850001, 0x00020228
.long 0x68000101
.long 0x2003C886
	;; [unrolled: 1-line block ×4, first 2 shown]
.long 0xD1FE00A2, 0x02020101
.long 0x69454484
.long 0x923E8128
.long 0x923F8228
.long 0x92408328
.long 0x92419028
.long 0x92429128
.long 0x92439228
.long 0x92449328
.long 0x9245A028
.long 0x9246A128
.long 0x9247A228
.long 0x9248A328
.long 0x9249B028
.long 0x924AB128
.long 0x924BB228
.long 0x924CB328
.long 0xD2850006, 0x0002042A
.long 0x33460D03
.long 0x69474684
	;; [unrolled: 1-line block ×33, first 2 shown]
.long 0x965FFF02, 0x00000100
.long 0x925EFF02, 0x00000100
.long 0x965D08C0
.long 0x925C08C0
	;; [unrolled: 1-line block ×30, first 2 shown]
.long 0xBEB300FF, 0x00020000
.long 0x965FFF03, 0x00000100
.long 0x925EFF03, 0x00000100
.long 0x965F2A5E
.long 0x925E2A5E
	;; [unrolled: 1-line block ×32, first 2 shown]
.long 0xBEB700FF, 0x00020000
.long 0x925CC02E
.long 0x920F285C
.long 0x925CFF2E, 0x00000080
.long 0xBEAF005C
.long 0x8F0B861B
	;; [unrolled: 1-line block ×9, first 2 shown]
.long 0xD1080001, 0x00005D00
.long 0x6A02020B
.long 0xD0DA007E, 0x00005D01
.long 0x68000081
.long 0x7E020280
	;; [unrolled: 1-line block ×11, first 2 shown]
.long 0xE0501000, 0x800CA5A2
.long 0xE0501000, 0x3E0CA7A2
	;; [unrolled: 1-line block ×32, first 2 shown]
.long 0x80300F30
.long 0x82318031
	;; [unrolled: 1-line block ×14, first 2 shown]
.long 0xBE9200FF, 0x80000000
.long 0xBE9300FF, 0x00020000
.long 0xBE94001E
.long 0xBE95001F
.long 0xBE9600FF, 0x80000000
.long 0xBE9700FF, 0x00020000
	;; [unrolled: 1-line block ×3, first 2 shown]
.long 0x965D265E
.long 0x925C265E
	;; [unrolled: 1-line block ×39, first 2 shown]
.long 0xD3D94000, 0x18000080
.long 0xD3D94001, 0x18000080
	;; [unrolled: 1-line block ×256, first 2 shown]
.long 0xBF06800B
.long 0xBF840006
	;; [unrolled: 1-line block ×3, first 2 shown]
.long 0x815E84FF, 0x00003CD4
.long 0x805C5E5C
.long 0x825D805D
	;; [unrolled: 1-line block ×20, first 2 shown]
.long 0xD89A0000, 0x0000C4A1
.long 0xD89A0220, 0x0000C6A1
	;; [unrolled: 1-line block ×16, first 2 shown]
.long 0xBF06810B
.long 0xBF850040
.long 0xE0541000, 0x800DA4A3
.long 0xE0541000, 0x4D0DA6A3
	;; [unrolled: 1-line block ×32, first 2 shown]
.long 0xBF8CC07F
.long 0xBF8A0000
.long 0x7FECACF9, 0x000406E6
.long 0x7E0014F9, 0x000614F6
	;; [unrolled: 1-line block ×40, first 2 shown]
.long 0xBF06810B
.long 0xBF850B72
	;; [unrolled: 1-line block ×5, first 2 shown]
.long 0xD3CD8000, 0x04020120
.long 0xD8EC0020, 0x400000E5
.long 0x80300F30
.long 0xD3CD8004, 0x04120520
.long 0xD8EC08A0, 0x420000E5
.long 0x82318031
	;; [unrolled: 3-line block ×12, first 2 shown]
.long 0xD3CD8030, 0x04C20126
.long 0xD8EC6620, 0x580000E5
	;; [unrolled: 1-line block ×136, first 2 shown]
.long 0xBF8CCF7F
.long 0xD3CD8000, 0x04021140
.long 0x7FECACF9, 0x000406F2
	;; [unrolled: 1-line block ×29, first 2 shown]
.long 0xBF8CC07F
.long 0xBF8A0000
.long 0xD3CD8020, 0x04821144
.long 0xBF8C4F7F
.long 0xD89A0000, 0x0000A4A1
.long 0xD3CD8024, 0x04921544
	;; [unrolled: 1-line block ×10, first 2 shown]
.long 0xBF8C4F7F
.long 0xD89A0220, 0x0000A6A1
.long 0xD3CD8038, 0x04E21946
.long 0xE0501000, 0x3E0CA7A2
.long 0xD3CD803C, 0x04F21D46
.long 0xD3CD8040, 0x05021148
.long 0xD3CD8044, 0x05121548
.long 0xD3CD8048, 0x05221948
.long 0xBF8C4F7F
.long 0xD89A0440, 0x0000A8A1
.long 0xD3CD804C, 0x05321D48
.long 0xE0501000, 0x3F0CA9A2
.long 0xD3CD8050, 0x0542114A
.long 0xD3CD8054, 0x0552154A
.long 0xD3CD8058, 0x0562194A
.long 0xD3CD805C, 0x05721D4A
	;; [unrolled: 8-line block ×10, first 2 shown]
.long 0xBF8C4F7F
.long 0xD89A1760, 0x0000BAA1
.long 0xBF8CCC7F
.long 0xD3CD8000, 0x04022160
.long 0xE0501000, 0x480CBBA2
.long 0xD3CD8004, 0x04122560
.long 0xD3CD8008, 0x04222960
.long 0xD3CD800C, 0x04322D60
.long 0xD3CD8010, 0x04422162
.long 0xBF8C4F7F
.long 0xD89A1980, 0x0000BCA1
.long 0xD3CD8014, 0x04522562
.long 0xE0501000, 0x490CBDA2
.long 0xD3CD8018, 0x04622962
.long 0xD3CD801C, 0x04722D62
.long 0xD3CD8020, 0x04822164
.long 0xD3CD8024, 0x04922564
.long 0xBF8C4F7F
.long 0xD89A1BA0, 0x0000BEA1
	;; [unrolled: 8-line block ×4, first 2 shown]
.long 0xD3CD8050, 0x0542216A
.long 0xE0501000, 0x4C0CC3A2
.long 0xD3CD8054, 0x0552256A
.long 0xD3CD8058, 0x0562296A
.long 0xD3CD805C, 0x05722D6A
.long 0xD3CD8060, 0x0582216C
.long 0xBF8C4F7F
.long 0x7FCC03C5
.long 0xD3CD8064, 0x0592256C
.long 0xE0541000, 0x800DC4A3
.long 0xD3CD8068, 0x05A2296C
.long 0xD3CD806C, 0x05B22D6C
.long 0xD3CD8070, 0x05C2216E
.long 0xD3CD8074, 0x05D2256E
.long 0xBF8C4F7F
.long 0x7FCE03C7
	;; [unrolled: 8-line block ×8, first 2 shown]
.long 0xD3CD80F0, 0x07C2217E
.long 0xE0541000, 0x530DD2A3
	;; [unrolled: 1-line block ×5, first 2 shown]
.long 0xBF8CCD7F
.long 0xD3CD8000, 0x04023180
.long 0xBF8C4F7F
.long 0x7FDC03D5
.long 0xD3CD8004, 0x04123580
.long 0xE0541000, 0x540DD4A3
.long 0xD3CD8008, 0x04223980
.long 0xD3CD800C, 0x04323D80
.long 0xD3CD8010, 0x04423182
.long 0xD3CD8014, 0x04523582
.long 0xBF8C4F7F
.long 0x7FDE03D7
.long 0xD3CD8018, 0x04623982
.long 0xE0541000, 0x550DD6A3
.long 0xD3CD801C, 0x04723D82
.long 0xD3CD8020, 0x04823184
.long 0xD3CD8024, 0x04923584
	;; [unrolled: 8-line block ×7, first 2 shown]
.long 0xD3CD808C, 0x06323D90
.long 0xBF8C4F7F
.long 0x7FEA03E3
.long 0xD3CD8090, 0x06423192
.long 0xE0541000, 0x5B0DE2A3
	;; [unrolled: 1-line block ×4, first 2 shown]
.long 0xBF8CC07F
.long 0xBF8A0000
.long 0xD3CD809C, 0x06723D92
.long 0xD8EC0000, 0x200000E5
	;; [unrolled: 1-line block ×65, first 2 shown]
.long 0x808B810B
.long 0xBF8CC07F
.long 0xD3CD8000, 0x04020120
.long 0xD8EC0020, 0x400000E5
.long 0x80300F30
.long 0xD3CD8004, 0x04120520
.long 0xD8EC08A0, 0x420000E5
	;; [unrolled: 3-line block ×13, first 2 shown]
.long 0xD3CD8034, 0x04D20526
.long 0xD8EC6EA0, 0x5A0000E5
	;; [unrolled: 1-line block ×134, first 2 shown]
.long 0xBF8CCF7F
.long 0xD3CD8000, 0x04021140
.long 0x7FECACF9, 0x000406F2
	;; [unrolled: 1-line block ×29, first 2 shown]
.long 0xBF8CC07F
.long 0xBF8A0000
.long 0xD3CD8020, 0x04821144
.long 0xBF8C4F7F
.long 0x7FCC03A5
.long 0xD3CD8024, 0x04921544
.long 0xE0541000, 0x800DA4A3
	;; [unrolled: 1-line block ×9, first 2 shown]
.long 0xBF8C4F7F
.long 0x7FCE03A7
.long 0xD3CD8038, 0x04E21946
.long 0xE0541000, 0x4D0DA6A3
.long 0xD3CD803C, 0x04F21D46
.long 0xD3CD8040, 0x05021148
.long 0xD3CD8044, 0x05121548
.long 0xD3CD8048, 0x05221948
.long 0xBF8C4F7F
.long 0x7FD003A9
.long 0xD3CD804C, 0x05321D48
.long 0xE0541000, 0x4E0DA8A3
.long 0xD3CD8050, 0x0542114A
.long 0xD3CD8054, 0x0552154A
.long 0xD3CD8058, 0x0562194A
.long 0xD3CD805C, 0x05721D4A
	;; [unrolled: 8-line block ×10, first 2 shown]
.long 0xBF8C4F7F
.long 0x7FE203BB
	;; [unrolled: 1-line block ×3, first 2 shown]
.long 0xD3CD8000, 0x04022160
.long 0xE0541000, 0x570DBAA3
.long 0xD3CD8004, 0x04122560
.long 0xD3CD8008, 0x04222960
.long 0xD3CD800C, 0x04322D60
.long 0xD3CD8010, 0x04422162
.long 0xBF8C4F7F
.long 0x7FE403BD
.long 0xD3CD8014, 0x04522562
.long 0xE0541000, 0x580DBCA3
.long 0xD3CD8018, 0x04622962
.long 0xD3CD801C, 0x04722D62
.long 0xD3CD8020, 0x04822164
.long 0xD3CD8024, 0x04922564
.long 0xBF8C4F7F
.long 0x7FE603BF
	;; [unrolled: 8-line block ×4, first 2 shown]
.long 0xD3CD8050, 0x0542216A
.long 0xE0541000, 0x5B0DC2A3
.long 0xD3CD8054, 0x0552256A
.long 0xD3CD8058, 0x0562296A
.long 0xD3CD805C, 0x05722D6A
.long 0xD3CD8060, 0x0582216C
.long 0xBF8C4F7F
.long 0xD89A0000, 0x0000C4A1
.long 0xD3CD8064, 0x0592256C
.long 0xE0501000, 0x800CC5A2
.long 0xD3CD8068, 0x05A2296C
.long 0xD3CD806C, 0x05B22D6C
.long 0xD3CD8070, 0x05C2216E
.long 0xD3CD8074, 0x05D2256E
.long 0xBF8C4F7F
.long 0xD89A0220, 0x0000C6A1
	;; [unrolled: 8-line block ×8, first 2 shown]
.long 0xD3CD80F0, 0x07C2217E
.long 0xE0501000, 0x440CD3A2
	;; [unrolled: 1-line block ×5, first 2 shown]
.long 0xBF8CCD7F
.long 0xD3CD8000, 0x04023180
.long 0xBF8C4F7F
.long 0xD89A1100, 0x0000D4A1
.long 0xD3CD8004, 0x04123580
.long 0xE0501000, 0x450CD5A2
.long 0xD3CD8008, 0x04223980
.long 0xD3CD800C, 0x04323D80
.long 0xD3CD8010, 0x04423182
.long 0xD3CD8014, 0x04523582
.long 0xBF8C4F7F
.long 0xD89A1320, 0x0000D6A1
.long 0xD3CD8018, 0x04623982
.long 0xE0501000, 0x460CD7A2
.long 0xD3CD801C, 0x04723D82
.long 0xD3CD8020, 0x04823184
.long 0xD3CD8024, 0x04923584
	;; [unrolled: 8-line block ×7, first 2 shown]
.long 0xD3CD808C, 0x06323D90
.long 0xBF8C4F7F
.long 0xD89A1FE0, 0x0000E2A1
.long 0xD3CD8090, 0x06423192
	;; [unrolled: 1-line block ×5, first 2 shown]
.long 0xBF8CC07F
.long 0xBF8A0000
.long 0xD3CD809C, 0x06723D92
.long 0xD8EC0000, 0x200000E5
	;; [unrolled: 1-line block ×65, first 2 shown]
.long 0x808B810B
.long 0xBF00820B
	;; [unrolled: 1-line block ×4, first 2 shown]
.long 0xD3CD8000, 0x04020120
.long 0xD8EC0020, 0x400000E5
.long 0x80300F30
.long 0xD3CD8004, 0x04120520
.long 0xD8EC08A0, 0x420000E5
.long 0x82318031
	;; [unrolled: 3-line block ×12, first 2 shown]
.long 0xD3CD8030, 0x04C20126
.long 0xD8EC6620, 0x580000E5
	;; [unrolled: 1-line block ×136, first 2 shown]
.long 0xBF8CCF7F
.long 0xD3CD8000, 0x04021140
.long 0x7FECACF9, 0x000406F2
	;; [unrolled: 1-line block ×29, first 2 shown]
.long 0xBF8CC07F
.long 0xBF8A0000
.long 0xD3CD8020, 0x04821144
.long 0xBF8C4F7F
.long 0xD89A0000, 0x0000A4A1
.long 0xD3CD8024, 0x04921544
	;; [unrolled: 1-line block ×9, first 2 shown]
.long 0xBF8C4F7E
.long 0xD89A0220, 0x0000A6A1
.long 0xD3CD8038, 0x04E21946
.long 0xD3CD803C, 0x04F21D46
.long 0xD3CD8040, 0x05021148
.long 0xD3CD8044, 0x05121548
.long 0xD3CD8048, 0x05221948
.long 0xBF8C4F7D
.long 0xD89A0440, 0x0000A8A1
.long 0xD3CD804C, 0x05321D48
.long 0xD3CD8050, 0x0542114A
.long 0xD3CD8054, 0x0552154A
.long 0xD3CD8058, 0x0562194A
.long 0xD3CD805C, 0x05721D4A
.long 0xBF8C4F7C
.long 0xD89A0660, 0x0000AAA1
.long 0xD3CD8060, 0x0582114C
.long 0xD3CD8064, 0x0592154C
.long 0xD3CD8068, 0x05A2194C
.long 0xD3CD806C, 0x05B21D4C
.long 0xD3CD8070, 0x05C2114E
.long 0xBF8C4F7B
.long 0xD89A0880, 0x0000ACA1
.long 0xD3CD8074, 0x05D2154E
.long 0xD3CD8078, 0x05E2194E
.long 0xD3CD807C, 0x05F21D4E
.long 0xD3CD8080, 0x06021150
.long 0xD3CD8084, 0x06121550
.long 0xBF8C4F7A
.long 0xD89A0AA0, 0x0000AEA1
.long 0xD3CD8088, 0x06221950
.long 0xD3CD808C, 0x06321D50
.long 0xD3CD8090, 0x06421152
.long 0xD3CD8094, 0x06521552
.long 0xD3CD8098, 0x06621952
.long 0xBF8C4F79
.long 0xD89A0CC0, 0x0000B0A1
.long 0xD3CD809C, 0x06721D52
.long 0xD3CD80A0, 0x06821154
.long 0xD3CD80A4, 0x06921554
.long 0xD3CD80A8, 0x06A21954
.long 0xD3CD80AC, 0x06B21D54
.long 0xBF8C4F78
.long 0xD89A0EE0, 0x0000B2A1
.long 0xD3CD80B0, 0x06C21156
.long 0xD3CD80B4, 0x06D21556
.long 0xD3CD80B8, 0x06E21956
.long 0xD3CD80BC, 0x06F21D56
.long 0xD3CD80C0, 0x07021158
.long 0xBF8C4F77
.long 0xD89A1100, 0x0000B4A1
.long 0xD3CD80C4, 0x07121558
.long 0xD3CD80C8, 0x07221958
.long 0xD3CD80CC, 0x07321D58
.long 0xD3CD80D0, 0x0742115A
.long 0xD3CD80D4, 0x0752155A
.long 0xBF8C4F76
.long 0xD89A1320, 0x0000B6A1
.long 0xD3CD80D8, 0x0762195A
.long 0xD3CD80DC, 0x07721D5A
.long 0xD3CD80E0, 0x0782115C
.long 0xD3CD80E4, 0x0792155C
.long 0xD3CD80E8, 0x07A2195C
.long 0xBF8C4F75
.long 0xD89A1540, 0x0000B8A1
.long 0xD3CD80EC, 0x07B21D5C
.long 0xD3CD80F0, 0x07C2115E
.long 0xD3CD80F4, 0x07D2155E
.long 0xD3CD80F8, 0x07E2195E
.long 0xD3CD80FC, 0x07F21D5E
.long 0xBF8C4F74
.long 0xD89A1760, 0x0000BAA1
.long 0xBF8CCC7F
.long 0xD3CD8000, 0x04022160
.long 0xD3CD8004, 0x04122560
.long 0xD3CD8008, 0x04222960
.long 0xD3CD800C, 0x04322D60
.long 0xD3CD8010, 0x04422162
.long 0xBF8C4F73
.long 0xD89A1980, 0x0000BCA1
.long 0xD3CD8014, 0x04522562
.long 0xD3CD8018, 0x04622962
.long 0xD3CD801C, 0x04722D62
.long 0xD3CD8020, 0x04822164
.long 0xD3CD8024, 0x04922564
.long 0xBF8C4F72
.long 0xD89A1BA0, 0x0000BEA1
	;; [unrolled: 7-line block ×4, first 2 shown]
.long 0xD3CD8050, 0x0542216A
.long 0xD3CD8054, 0x0552256A
.long 0xD3CD8058, 0x0562296A
.long 0xD3CD805C, 0x05722D6A
.long 0xD3CD8060, 0x0582216C
.long 0xBF8C0F7F
.long 0x7FCC03C5
.long 0xD3CD8064, 0x0592256C
.long 0xD3CD8068, 0x05A2296C
.long 0xD3CD806C, 0x05B22D6C
.long 0xD3CD8070, 0x05C2216E
.long 0xD3CD8074, 0x05D2256E
.long 0xBF8C0F7E
.long 0x7FCE03C7
	;; [unrolled: 7-line block ×8, first 2 shown]
.long 0xD3CD80F0, 0x07C2217E
.long 0xD3CD80F4, 0x07D2257E
	;; [unrolled: 1-line block ×4, first 2 shown]
.long 0xBF8CCD7F
.long 0xD3CD8000, 0x04023180
.long 0xBF8C0F77
.long 0x7FDC03D5
.long 0xD3CD8004, 0x04123580
.long 0xD3CD8008, 0x04223980
.long 0xD3CD800C, 0x04323D80
.long 0xD3CD8010, 0x04423182
.long 0xD3CD8014, 0x04523582
.long 0xBF8C0F76
.long 0x7FDE03D7
.long 0xD3CD8018, 0x04623982
.long 0xD3CD801C, 0x04723D82
.long 0xD3CD8020, 0x04823184
.long 0xD3CD8024, 0x04923584
	;; [unrolled: 7-line block ×7, first 2 shown]
.long 0xD3CD808C, 0x06323D90
.long 0xBF8C0F70
.long 0x7FEA03E3
.long 0xD3CD8090, 0x06423192
.long 0xD3CD8094, 0x06523592
.long 0xD3CD8098, 0x06623992
.long 0xBF8CC07F
.long 0xBF8A0000
.long 0xD3CD809C, 0x06723D92
.long 0xD8EC0000, 0x200000E5
	;; [unrolled: 1-line block ×65, first 2 shown]
.long 0xBF06812E
.long 0xBF840000
	;; [unrolled: 1-line block ×3, first 2 shown]
.long 0xD3CD8000, 0x04020120
.long 0xD8EC0020, 0x400000E5
	;; [unrolled: 1-line block ×160, first 2 shown]
.long 0xBF8CCF7F
.long 0xD3CD8000, 0x04021140
.long 0x7FECACF9, 0x000406F2
	;; [unrolled: 1-line block ×88, first 2 shown]
.long 0xBF8CC07F
.long 0xD3CD8000, 0x04022160
.long 0xD3CD8004, 0x04122560
	;; [unrolled: 1-line block ×62, first 2 shown]
.long 0xBF8CC07F
.long 0xBF8A0000
.long 0xD3CD80F8, 0x07E2297E
.long 0xD3CD80FC, 0x07F22D7E
.long 0xBF8CC07F
.long 0xD3CD8000, 0x04023180
.long 0xD3CD8004, 0x04123580
	;; [unrolled: 1-line block ×64, first 2 shown]
.long 0x860B1BBF
.long 0xBF070908
.long 0xBE8B0280
.long 0xBF06800B
.long 0xBE8C0080
.long 0xBF8503AB
.long 0xE0801000, 0x800CA5A2
.long 0xE0801001, 0x800C00A2
.long 0xE0841002, 0x800C01A2
.long 0xE0841003, 0x800C02A2
.long 0xBF8C0F72
.long 0x24000088
.long 0x294A01A5
.long 0xBF8C0F71
.long 0x294A03A5
.long 0xBF8C0F70
.long 0x24040488
.long 0x294A05A5
.long 0xE0801000, 0x3E0CA7A2
.long 0xE0801001, 0x3E0C00A2
.long 0xE0841002, 0x3E0C01A2
.long 0xE0841003, 0x3E0C02A2
.long 0xBF8C0F72
.long 0x24000088
	;; [unrolled: 12-line block ×16, first 2 shown]
.long 0x298601C3
.long 0xBF8C0F71
	;; [unrolled: 1-line block ×6, first 2 shown]
.long 0xE0901000, 0x800DC4A3
.long 0xE0941002, 0x800D00A3
.long 0xBF8C0F70
.long 0x298801C4
.long 0xE0901004, 0x800DC5A3
.long 0xE0941006, 0x800D00A3
.long 0xBF8C0F70
.long 0x298A01C5
	;; [unrolled: 4-line block ×32, first 2 shown]
.long 0xBF8C0F70
.long 0xBF8A0000
	;; [unrolled: 1-line block ×18, first 2 shown]
.long 0xD89A0000, 0x0000C4A1
.long 0xD89A0220, 0x0000C6A1
	;; [unrolled: 1-line block ×16, first 2 shown]
.long 0xBF8CC07F
.long 0xBF8A0000
.long 0x7FECACF9, 0x000406E6
.long 0x7E0014F9, 0x000614F6
	;; [unrolled: 1-line block ×24, first 2 shown]
.long 0x7FCC03EA
.long 0x7FCE03EB
	;; [unrolled: 1-line block ×12, first 2 shown]
.long 0xD8EC0000, 0x200000E5
.long 0xD8EC0880, 0x220000E5
.long 0xD8EC1100, 0x240000E5
.long 0xD8EC1980, 0x260000E5
.long 0xD8EC2200, 0x280000E5
.long 0xD8EC2A80, 0x2A0000E5
.long 0xD8EC3300, 0x2C0000E5
.long 0xD8EC3B80, 0x2E0000E5
.long 0xD8EC4400, 0x300000E5
.long 0xD8EC4C80, 0x320000E5
.long 0xD8EC5500, 0x340000E5
.long 0xD8EC5D80, 0x360000E5
.long 0xD8EC6600, 0x380000E5
.long 0xD8EC6E80, 0x3A0000E5
.long 0xD8EC7700, 0x3C0000E5
.long 0xD8EC7F80, 0x3E0000E5
.long 0xBE8500A0
.long 0x33CBCA05
	;; [unrolled: 1-line block ×6, first 2 shown]
.long 0xD0C6005C, 0x000017A8
.long 0xD1000000, 0x01710100
	;; [unrolled: 1-line block ×41, first 2 shown]
.long 0x6B51500B
.long 0xD0C1005C, 0x000109A8
.long 0x865E830B
.long 0x80DE5E84
	;; [unrolled: 1-line block ×3, first 2 shown]
.long 0xD28F00AA, 0x0002005E
.long 0xD1000000, 0x01735500
	;; [unrolled: 1-line block ×60, first 2 shown]
.long 0xBF800001
.long 0xD3CD8000, 0x04020120
.long 0xD3CD8004, 0x04120520
	;; [unrolled: 1-line block ×64, first 2 shown]
.long 0x818B900B
.long 0x800C900C
	;; [unrolled: 1-line block ×8, first 2 shown]
.long 0xC00E0C00, 0x00000058
.long 0xC00A0E00, 0x00000078
	;; [unrolled: 1-line block ×3, first 2 shown]
.long 0xBF82000A
.long 0xC00A0C03, 0x00000070
.long 0xC00A0D03, 0x00000090
	;; [unrolled: 1-line block ×5, first 2 shown]
.long 0x2009C886
.long 0x200A0882
.long 0xD2850005, 0x00020A90
.long 0x2603C8BF
.long 0x20020284
	;; [unrolled: 1-line block ×3, first 2 shown]
.long 0xD1FE0001, 0x02020305
.long 0xD2850002, 0x00004D01
	;; [unrolled: 1-line block ×3, first 2 shown]
.long 0x26000883
.long 0xD2850000, 0x00020090
.long 0x260BC88F
.long 0xD1FE0000, 0x020A0105
.long 0x920502FF, 0x00000100
.long 0x68000005
.long 0x920503FF, 0x00000100
.long 0x68020205
.long 0xBF8CC07F
	;; [unrolled: 1-line block ×4, first 2 shown]
.long 0x864818FF, 0x000000FF
.long 0x80490DC1
.long 0xBF094902
	;; [unrolled: 1-line block ×5, first 2 shown]
.long 0x864819FF, 0x000000FF
.long 0x80490EC1
.long 0xBF094903
	;; [unrolled: 1-line block ×5, first 2 shown]
.long 0xD1FE0006, 0x020A0103
.long 0xD3D84008, 0x18000100
.long 0xD3D84009, 0x18000104
.long 0xD3D8400A, 0x18000108
.long 0xD3D8400B, 0x1800010C
.long 0xD3D8400C, 0x18000101
.long 0xD3D8400D, 0x18000105
.long 0xD3D8400E, 0x18000109
.long 0xD3D8400F, 0x1800010D
.long 0xD3D84010, 0x18000102
.long 0xD3D84011, 0x18000106
.long 0xD3D84012, 0x1800010A
.long 0xD3D84013, 0x1800010E
.long 0xD3D84014, 0x18000103
.long 0xD3D84015, 0x18000107
.long 0xD3D84016, 0x1800010B
.long 0xD3D84017, 0x1800010F
.long 0xD3D84018, 0x18000110
.long 0xD3D84019, 0x18000114
.long 0xD3D8401A, 0x18000118
.long 0xD3D8401B, 0x1800011C
.long 0xD3D8401C, 0x18000111
.long 0xD3D8401D, 0x18000115
.long 0xD3D8401E, 0x18000119
.long 0xD3D8401F, 0x1800011D
.long 0xD3D84020, 0x18000112
.long 0xD3D84021, 0x18000116
.long 0xD3D84022, 0x1800011A
.long 0xD3D84023, 0x1800011E
.long 0xD3D84024, 0x18000113
.long 0xD3D84025, 0x18000117
.long 0xD3D84026, 0x1800011B
.long 0xD3D84027, 0x1800011F
.long 0xD3D84028, 0x18000120
.long 0xD3D84029, 0x18000124
.long 0xD3D8402A, 0x18000128
.long 0xD3D8402B, 0x1800012C
.long 0xD3D8402C, 0x18000121
.long 0xD3D8402D, 0x18000125
.long 0xD3D8402E, 0x18000129
.long 0xD3D8402F, 0x1800012D
.long 0xD3D84030, 0x18000122
.long 0xD3D84031, 0x18000126
.long 0xD3D84032, 0x1800012A
.long 0xD3D84033, 0x1800012E
.long 0xD3D84034, 0x18000123
.long 0xD3D84035, 0x18000127
.long 0xD3D84036, 0x1800012B
.long 0xD3D84037, 0x1800012F
.long 0xD3D84038, 0x18000130
.long 0xD3D84039, 0x18000134
.long 0xD3D8403A, 0x18000138
.long 0xD3D8403B, 0x1800013C
.long 0xD3D8403C, 0x18000131
.long 0xD3D8403D, 0x18000135
.long 0xD3D8403E, 0x18000139
.long 0xD3D8403F, 0x1800013D
.long 0xD3D84040, 0x18000132
.long 0xD3D84041, 0x18000136
.long 0xD3D84042, 0x1800013A
.long 0xD3D84043, 0x1800013E
.long 0xD3D84044, 0x18000133
.long 0xD3D84045, 0x18000137
.long 0xD3D84046, 0x1800013B
.long 0xD3D84047, 0x1800013F
.long 0xBF800001
.long 0xE07C1000, 0x80040806
.long 0x8E3E8224
.long 0x80103E10
.long 0x82118011
.long 0xE07C1000, 0x80040C06
.long 0x8E3E8224
.long 0x80103E10
	;; [unrolled: 4-line block ×15, first 2 shown]
.long 0x82118011
.long 0xE07C1000, 0x80044406
.long 0xBF800000
.long 0xD3D84008, 0x18000140
.long 0xD3D84009, 0x18000144
.long 0xD3D8400A, 0x18000148
.long 0xD3D8400B, 0x1800014C
.long 0xD3D8400C, 0x18000141
.long 0xD3D8400D, 0x18000145
.long 0xD3D8400E, 0x18000149
.long 0xD3D8400F, 0x1800014D
.long 0xD3D84010, 0x18000142
.long 0xD3D84011, 0x18000146
.long 0xD3D84012, 0x1800014A
.long 0xD3D84013, 0x1800014E
.long 0xD3D84014, 0x18000143
.long 0xD3D84015, 0x18000147
.long 0xD3D84016, 0x1800014B
.long 0xD3D84017, 0x1800014F
.long 0xD3D84018, 0x18000150
.long 0xD3D84019, 0x18000154
.long 0xD3D8401A, 0x18000158
.long 0xD3D8401B, 0x1800015C
.long 0xD3D8401C, 0x18000151
.long 0xD3D8401D, 0x18000155
.long 0xD3D8401E, 0x18000159
.long 0xD3D8401F, 0x1800015D
.long 0xD3D84020, 0x18000152
.long 0xD3D84021, 0x18000156
.long 0xD3D84022, 0x1800015A
.long 0xD3D84023, 0x1800015E
.long 0xD3D84024, 0x18000153
.long 0xD3D84025, 0x18000157
.long 0xD3D84026, 0x1800015B
.long 0xD3D84027, 0x1800015F
.long 0xD3D84028, 0x18000160
.long 0xD3D84029, 0x18000164
.long 0xD3D8402A, 0x18000168
.long 0xD3D8402B, 0x1800016C
.long 0xD3D8402C, 0x18000161
.long 0xD3D8402D, 0x18000165
.long 0xD3D8402E, 0x18000169
.long 0xD3D8402F, 0x1800016D
.long 0xD3D84030, 0x18000162
.long 0xD3D84031, 0x18000166
.long 0xD3D84032, 0x1800016A
.long 0xD3D84033, 0x1800016E
.long 0xD3D84034, 0x18000163
.long 0xD3D84035, 0x18000167
.long 0xD3D84036, 0x1800016B
.long 0xD3D84037, 0x1800016F
.long 0xD3D84038, 0x18000170
.long 0xD3D84039, 0x18000174
.long 0xD3D8403A, 0x18000178
.long 0xD3D8403B, 0x1800017C
.long 0xD3D8403C, 0x18000171
.long 0xD3D8403D, 0x18000175
.long 0xD3D8403E, 0x18000179
.long 0xD3D8403F, 0x1800017D
.long 0xD3D84040, 0x18000172
.long 0xD3D84041, 0x18000176
.long 0xD3D84042, 0x1800017A
.long 0xD3D84043, 0x1800017E
.long 0xD3D84044, 0x18000173
.long 0xD3D84045, 0x18000177
.long 0xD3D84046, 0x1800017B
.long 0xD3D84047, 0x1800017F
.long 0xBF800001
.long 0x923EB424
	;; [unrolled: 1-line block ×4, first 2 shown]
.long 0xE07C1000, 0x80040806
.long 0x8E3E8224
.long 0x80103E10
.long 0x82118011
.long 0xE07C1000, 0x80040C06
.long 0x8E3E8224
.long 0x80103E10
.long 0x82118011
	;; [unrolled: 4-line block ×15, first 2 shown]
.long 0xE07C1000, 0x80044406
.long 0xBF800000
.long 0xD3D84008, 0x18000180
.long 0xD3D84009, 0x18000184
	;; [unrolled: 1-line block ×64, first 2 shown]
.long 0xBF800001
.long 0x923EB424
	;; [unrolled: 1-line block ×4, first 2 shown]
.long 0xE07C1000, 0x80040806
.long 0x8E3E8224
.long 0x80103E10
.long 0x82118011
.long 0xE07C1000, 0x80040C06
.long 0x8E3E8224
.long 0x80103E10
.long 0x82118011
	;; [unrolled: 4-line block ×15, first 2 shown]
.long 0xE07C1000, 0x80044406
.long 0xBF800000
.long 0xD3D84008, 0x180001C0
.long 0xD3D84009, 0x180001C4
	;; [unrolled: 1-line block ×64, first 2 shown]
.long 0xBF800001
.long 0x923EB424
	;; [unrolled: 1-line block ×4, first 2 shown]
.long 0xE07C1000, 0x80040806
.long 0x8E3E8224
.long 0x80103E10
.long 0x82118011
.long 0xE07C1000, 0x80040C06
.long 0x8E3E8224
.long 0x80103E10
.long 0x82118011
	;; [unrolled: 4-line block ×15, first 2 shown]
.long 0xE07C1000, 0x80044406
.long 0xBF800000
.long 0xBF820669
.long 0x7E9C02FF, 0x80000000
.long 0xD0C90048, 0x00003100
.long 0xD0C9004C, 0x00003301
.long 0x86CC4C48
.long 0xD1FE0006, 0x020A0103
.long 0xD1000006, 0x01320D4E
.long 0xD1196A01, 0x00010301
.long 0xD1340002, 0x00004D02
.long 0xD1340003, 0x00004903
.long 0xD0C90048, 0x00003100
.long 0xD0C9004C, 0x00003301
.long 0x86CC4C48
.long 0xD1FE0007, 0x020A0103
.long 0xD1000007, 0x01320F4E
.long 0xD1196A01, 0x00010301
.long 0xD1340002, 0x00004D02
.long 0xD1340003, 0x00004903
.long 0xD0C90048, 0x00003100
.long 0xD0C9004C, 0x00003301
.long 0x86CC4C48
.long 0xD1FE0010, 0x020A0103
.long 0xD1000010, 0x0132214E
.long 0xD1196A01, 0x00010301
.long 0xD1340002, 0x00004D02
.long 0xD1340003, 0x00004903
.long 0xD0C90048, 0x00003100
.long 0xD0C9004C, 0x00003301
.long 0x86CC4C48
.long 0xD1FE0011, 0x020A0103
.long 0xD1000011, 0x0132234E
.long 0xD1196A01, 0x00011B01
.long 0x92488D26
.long 0xD1340002, 0x00009102
.long 0x92488D24
.long 0xD1340003, 0x00009103
.long 0xD0C90048, 0x00003100
.long 0xD0C9004C, 0x00003301
.long 0x86CC4C48
.long 0xD1FE0012, 0x020A0103
.long 0xD1000012, 0x0132254E
.long 0xD1196A01, 0x00010301
.long 0xD1340002, 0x00004D02
.long 0xD1340003, 0x00004903
.long 0xD0C90048, 0x00003100
.long 0xD0C9004C, 0x00003301
.long 0x86CC4C48
.long 0xD1FE0013, 0x020A0103
.long 0xD1000013, 0x0132274E
.long 0xD1196A01, 0x00010301
.long 0xD1340002, 0x00004D02
.long 0xD1340003, 0x00004903
.long 0xD0C90048, 0x00003100
.long 0xD0C9004C, 0x00003301
.long 0x86CC4C48
.long 0xD1FE0024, 0x020A0103
.long 0xD1000024, 0x0132494E
.long 0xD1196A01, 0x00010301
.long 0xD1340002, 0x00004D02
.long 0xD1340003, 0x00004903
.long 0xD0C90048, 0x00003100
.long 0xD0C9004C, 0x00003301
.long 0x86CC4C48
.long 0xD1FE0025, 0x020A0103
.long 0xD1000025, 0x01324B4E
.long 0xD1196A01, 0x00011B01
.long 0x92488D26
.long 0xD1340002, 0x00009102
	;; [unrolled: 34-line block ×3, first 2 shown]
.long 0x92488D24
.long 0xD1340003, 0x00009103
.long 0xD0C90048, 0x00003100
.long 0xD0C9004C, 0x00003301
.long 0x86CC4C48
.long 0xD1FE003A, 0x020A0103
.long 0xD100003A, 0x0132754E
.long 0xD1196A01, 0x00010301
.long 0xD1340002, 0x00004D02
.long 0xD1340003, 0x00004903
.long 0xD0C90048, 0x00003100
.long 0xD0C9004C, 0x00003301
.long 0x86CC4C48
.long 0xD1FE003B, 0x020A0103
.long 0xD100003B, 0x0132774E
.long 0xD1196A01, 0x00010301
.long 0xD1340002, 0x00004D02
	;; [unrolled: 8-line block ×4, first 2 shown]
.long 0xD3D8400A, 0x18000108
.long 0xD3D8400B, 0x1800010C
	;; [unrolled: 1-line block ×62, first 2 shown]
.long 0xBF800001
.long 0xE07C1000, 0x80040806
.long 0xE07C1000, 0x80040C07
	;; [unrolled: 1-line block ×16, first 2 shown]
.long 0xBF800000
.long 0x7E9C02FF, 0x80000000
.long 0xD1196A01, 0x00011B01
.long 0x92488D26
.long 0xD1340002, 0x00009102
.long 0x92488D24
.long 0xD1340003, 0x00009103
.long 0xD0C90048, 0x00003100
.long 0xD0C9004C, 0x00003301
.long 0x86CC4C48
.long 0xD1FE0006, 0x020A0103
.long 0xD1000006, 0x01320D4E
.long 0xD1196A01, 0x00010301
.long 0xD1340002, 0x00004D02
.long 0xD1340003, 0x00004903
.long 0xD0C90048, 0x00003100
.long 0xD0C9004C, 0x00003301
.long 0x86CC4C48
.long 0xD1FE0007, 0x020A0103
.long 0xD1000007, 0x01320F4E
.long 0xD1196A01, 0x00010301
.long 0xD1340002, 0x00004D02
.long 0xD1340003, 0x00004903
.long 0xD0C90048, 0x00003100
.long 0xD0C9004C, 0x00003301
.long 0x86CC4C48
.long 0xD1FE0010, 0x020A0103
.long 0xD1000010, 0x0132214E
.long 0xD1196A01, 0x00010301
.long 0xD1340002, 0x00004D02
.long 0xD1340003, 0x00004903
.long 0xD0C90048, 0x00003100
.long 0xD0C9004C, 0x00003301
.long 0x86CC4C48
.long 0xD1FE0011, 0x020A0103
.long 0xD1000011, 0x0132234E
.long 0xD1196A01, 0x00011B01
.long 0x92488D26
.long 0xD1340002, 0x00009102
.long 0x92488D24
.long 0xD1340003, 0x00009103
.long 0xD0C90048, 0x00003100
.long 0xD0C9004C, 0x00003301
.long 0x86CC4C48
.long 0xD1FE0012, 0x020A0103
.long 0xD1000012, 0x0132254E
.long 0xD1196A01, 0x00010301
.long 0xD1340002, 0x00004D02
.long 0xD1340003, 0x00004903
.long 0xD0C90048, 0x00003100
.long 0xD0C9004C, 0x00003301
.long 0x86CC4C48
.long 0xD1FE0013, 0x020A0103
.long 0xD1000013, 0x0132274E
.long 0xD1196A01, 0x00010301
.long 0xD1340002, 0x00004D02
.long 0xD1340003, 0x00004903
.long 0xD0C90048, 0x00003100
.long 0xD0C9004C, 0x00003301
.long 0x86CC4C48
.long 0xD1FE0024, 0x020A0103
.long 0xD1000024, 0x0132494E
.long 0xD1196A01, 0x00010301
.long 0xD1340002, 0x00004D02
.long 0xD1340003, 0x00004903
.long 0xD0C90048, 0x00003100
.long 0xD0C9004C, 0x00003301
.long 0x86CC4C48
.long 0xD1FE0025, 0x020A0103
	;; [unrolled: 34-line block ×4, first 2 shown]
.long 0xD100004D, 0x01329B4E
.long 0xD3D84008, 0x18000140
	;; [unrolled: 1-line block ×65, first 2 shown]
.long 0xBF800001
.long 0xE07C1000, 0x80040806
.long 0xE07C1000, 0x80040C07
.long 0xE07C1000, 0x80041410
.long 0xE07C1000, 0x80041811
.long 0xE07C1000, 0x80041C12
.long 0xE07C1000, 0x80042013
.long 0xE07C1000, 0x80042824
.long 0xE07C1000, 0x80042C25
.long 0xE07C1000, 0x80043026
.long 0xE07C1000, 0x80043427
.long 0xE07C1000, 0x80043C38
.long 0xE07C1000, 0x80044039
.long 0xE07C1000, 0x8004443A
.long 0xE07C1000, 0x8004483B
.long 0xE07C1000, 0x8004504C
.long 0xE07C1000, 0x8004544D
.long 0xBF800000
.long 0x7E9C02FF, 0x80000000
.long 0xD1196A01, 0x00011B01
.long 0x92488D26
.long 0xD1340002, 0x00009102
.long 0x92488D24
.long 0xD1340003, 0x00009103
.long 0xD0C90048, 0x00003100
.long 0xD0C9004C, 0x00003301
.long 0x86CC4C48
.long 0xD1FE0006, 0x020A0103
.long 0xD1000006, 0x01320D4E
.long 0xD1196A01, 0x00010301
.long 0xD1340002, 0x00004D02
.long 0xD1340003, 0x00004903
.long 0xD0C90048, 0x00003100
.long 0xD0C9004C, 0x00003301
.long 0x86CC4C48
.long 0xD1FE0007, 0x020A0103
.long 0xD1000007, 0x01320F4E
.long 0xD1196A01, 0x00010301
.long 0xD1340002, 0x00004D02
.long 0xD1340003, 0x00004903
.long 0xD0C90048, 0x00003100
.long 0xD0C9004C, 0x00003301
.long 0x86CC4C48
.long 0xD1FE0010, 0x020A0103
.long 0xD1000010, 0x0132214E
.long 0xD1196A01, 0x00010301
.long 0xD1340002, 0x00004D02
.long 0xD1340003, 0x00004903
.long 0xD0C90048, 0x00003100
.long 0xD0C9004C, 0x00003301
.long 0x86CC4C48
.long 0xD1FE0011, 0x020A0103
.long 0xD1000011, 0x0132234E
.long 0xD1196A01, 0x00011B01
.long 0x92488D26
.long 0xD1340002, 0x00009102
.long 0x92488D24
.long 0xD1340003, 0x00009103
.long 0xD0C90048, 0x00003100
.long 0xD0C9004C, 0x00003301
.long 0x86CC4C48
.long 0xD1FE0012, 0x020A0103
.long 0xD1000012, 0x0132254E
.long 0xD1196A01, 0x00010301
.long 0xD1340002, 0x00004D02
.long 0xD1340003, 0x00004903
.long 0xD0C90048, 0x00003100
.long 0xD0C9004C, 0x00003301
.long 0x86CC4C48
.long 0xD1FE0013, 0x020A0103
.long 0xD1000013, 0x0132274E
.long 0xD1196A01, 0x00010301
.long 0xD1340002, 0x00004D02
.long 0xD1340003, 0x00004903
.long 0xD0C90048, 0x00003100
.long 0xD0C9004C, 0x00003301
.long 0x86CC4C48
.long 0xD1FE0024, 0x020A0103
.long 0xD1000024, 0x0132494E
.long 0xD1196A01, 0x00010301
.long 0xD1340002, 0x00004D02
.long 0xD1340003, 0x00004903
.long 0xD0C90048, 0x00003100
.long 0xD0C9004C, 0x00003301
.long 0x86CC4C48
.long 0xD1FE0025, 0x020A0103
	;; [unrolled: 34-line block ×4, first 2 shown]
.long 0xD100004D, 0x01329B4E
.long 0xD3D84008, 0x18000180
	;; [unrolled: 1-line block ×65, first 2 shown]
.long 0xBF800001
.long 0xE07C1000, 0x80040806
.long 0xE07C1000, 0x80040C07
	;; [unrolled: 1-line block ×16, first 2 shown]
.long 0xBF800000
.long 0x7E9C02FF, 0x80000000
.long 0xD1196A01, 0x00011B01
.long 0x92488D26
.long 0xD1340002, 0x00009102
.long 0x92488D24
.long 0xD1340003, 0x00009103
.long 0xD0C90048, 0x00003100
.long 0xD0C9004C, 0x00003301
.long 0x86CC4C48
.long 0xD1FE0006, 0x020A0103
.long 0xD1000006, 0x01320D4E
.long 0xD1196A01, 0x00010301
.long 0xD1340002, 0x00004D02
.long 0xD1340003, 0x00004903
.long 0xD0C90048, 0x00003100
.long 0xD0C9004C, 0x00003301
.long 0x86CC4C48
.long 0xD1FE0007, 0x020A0103
.long 0xD1000007, 0x01320F4E
.long 0xD1196A01, 0x00010301
.long 0xD1340002, 0x00004D02
.long 0xD1340003, 0x00004903
.long 0xD0C90048, 0x00003100
.long 0xD0C9004C, 0x00003301
.long 0x86CC4C48
.long 0xD1FE0010, 0x020A0103
.long 0xD1000010, 0x0132214E
.long 0xD1196A01, 0x00010301
.long 0xD1340002, 0x00004D02
.long 0xD1340003, 0x00004903
.long 0xD0C90048, 0x00003100
.long 0xD0C9004C, 0x00003301
.long 0x86CC4C48
.long 0xD1FE0011, 0x020A0103
.long 0xD1000011, 0x0132234E
.long 0xD1196A01, 0x00011B01
.long 0x92488D26
.long 0xD1340002, 0x00009102
.long 0x92488D24
.long 0xD1340003, 0x00009103
.long 0xD0C90048, 0x00003100
.long 0xD0C9004C, 0x00003301
.long 0x86CC4C48
.long 0xD1FE0012, 0x020A0103
.long 0xD1000012, 0x0132254E
.long 0xD1196A01, 0x00010301
.long 0xD1340002, 0x00004D02
.long 0xD1340003, 0x00004903
.long 0xD0C90048, 0x00003100
.long 0xD0C9004C, 0x00003301
.long 0x86CC4C48
.long 0xD1FE0013, 0x020A0103
.long 0xD1000013, 0x0132274E
.long 0xD1196A01, 0x00010301
.long 0xD1340002, 0x00004D02
.long 0xD1340003, 0x00004903
.long 0xD0C90048, 0x00003100
.long 0xD0C9004C, 0x00003301
.long 0x86CC4C48
.long 0xD1FE0024, 0x020A0103
.long 0xD1000024, 0x0132494E
.long 0xD1196A01, 0x00010301
.long 0xD1340002, 0x00004D02
.long 0xD1340003, 0x00004903
.long 0xD0C90048, 0x00003100
.long 0xD0C9004C, 0x00003301
.long 0x86CC4C48
.long 0xD1FE0025, 0x020A0103
	;; [unrolled: 34-line block ×4, first 2 shown]
.long 0xD100004D, 0x01329B4E
.long 0xD3D84008, 0x180001C0
	;; [unrolled: 1-line block ×65, first 2 shown]
.long 0xBF800001
.long 0xE07C1000, 0x80040806
.long 0xE07C1000, 0x80040C07
	;; [unrolled: 1-line block ×16, first 2 shown]
.long 0xBF800000
.long 0xBF820000
.long 0xBEC81C00
.long 0x814A84FF, 0x0000F6F8
.long 0x80484A48
.long 0x82498049
	;; [unrolled: 1-line block ×6, first 2 shown]
.long 0xC0020158, 0x00000000
.long 0xBEAF00F2
.long 0xBF128032
	;; [unrolled: 1-line block ×3, first 2 shown]
.long 0xC0020BD9, 0x00000000
.long 0xBEC00034
.long 0xBEC10035
.long 0xBEC300FF, 0x00020000
.long 0xBF128034
.long 0xBF840002
	;; [unrolled: 1-line block ×12, first 2 shown]
.long 0xBEC700FF, 0x00020000
.long 0xBF128036
.long 0xBF840002
	;; [unrolled: 1-line block ×8, first 2 shown]
.long 0x923D02FF, 0x00000100
.long 0x6811C83D
.long 0x923D0439
	;; [unrolled: 1-line block ×4, first 2 shown]
.long 0xE0501000, 0x80110408
.long 0x2411C882
.long 0xBF8C0F70
.long 0xBF8A0000
.long 0xD81A0000, 0x00000408
.long 0xBF820012
.long 0xB4B80004
.long 0xBF850010
.long 0x92464682
.long 0x923D02FF, 0x00000100
.long 0x6811C83D
	;; [unrolled: 5-line block ×4, first 2 shown]
.long 0x7E08022C
.long 0xBF8CC07F
.long 0xD1050004, 0x00000B04
.long 0xD1050004, 0x00005F04
.long 0xBF800000
.long 0x7E580504
.long 0xB43C0001
.long 0xBF850014
.long 0xB43C0002
.long 0xBF850018
.long 0xB43C0003
.long 0xBF85001C
.long 0xB43C0004
.long 0xBF850020
.long 0xB43C0005
.long 0xBF850024
.long 0xB43C0006
.long 0xBF850028
.long 0xB43C0007
.long 0xBF85002C
.long 0xB43C0009
.long 0xBF850030
.long 0xBEBE1C00
.long 0x810584FF, 0x0000F15C
.long 0x803E053E
.long 0x823F803F
.long 0xBF820030
.long 0xBEBE1C00
.long 0x810584FF, 0x0000F148
.long 0x803E053E
.long 0x823F803F
.long 0xBF82002A
.long 0xBEBE1C00
	;; [unrolled: 5-line block ×9, first 2 shown]
.long 0xBF841A80
.long 0x864A18FF, 0x000000FF
.long 0x804B0DC1
.long 0xBF094B02
.long 0x854A804A
.long 0xB54A0000
.long 0xBF850ABA
.long 0x864A19FF, 0x000000FF
.long 0x804B0EC1
.long 0xBF094B03
	;; [unrolled: 1-line block ×5, first 2 shown]
.long 0x924A02FF, 0x00000100
.long 0xD135000B, 0x00009500
.long 0x24161682
.long 0xBF8CC07F
	;; [unrolled: 1-line block ×3, first 2 shown]
.long 0xD9FE0000, 0x1000000B
.long 0x24180082
.long 0xE05C1000, 0x8010140C
.long 0xD1FE0009, 0x020A0103
	;; [unrolled: 1-line block ×66, first 2 shown]
.long 0xBF800001
.long 0x0A30302C
	;; [unrolled: 1-line block ×66, first 2 shown]
.long 0xD0CC0034, 0x00010042
.long 0xD1000014, 0x00D228F2
	;; [unrolled: 1-line block ×10, first 2 shown]
.long 0xBEC81E3E
.long 0x7E300304
.long 0x7E320305
.long 0x7E340306
.long 0x7E360307
.long 0xE07C1000, 0x80041809
.long 0xD0CC0034, 0x00010042
.long 0xD1000014, 0x00D228F2
.long 0xD1000015, 0x00D22AF2
.long 0xD3B1401C, 0x18023914
.long 0xD0CC0034, 0x00010042
.long 0xD1000016, 0x00D22CF2
.long 0xD1000017, 0x00D22EF2
.long 0xD3B1401E, 0x18023D16
.long 0xD3B24004, 0x18023910
.long 0xD3B24006, 0x18023D12
.long 0xBEC81E3E
.long 0x7E380304
.long 0x7E3A0305
.long 0x7E3C0306
.long 0x7E3E0307
.long 0x8E4A8224
.long 0x80104A10
.long 0x82118011
.long 0xE07C1000, 0x80041C09
.long 0xD0CC0034, 0x00010042
.long 0xD1000014, 0x00D228F2
.long 0xD1000015, 0x00D22AF2
.long 0xD3B14020, 0x18024114
.long 0xD0CC0034, 0x00010042
.long 0xD1000016, 0x00D22CF2
.long 0xD1000017, 0x00D22EF2
.long 0xD3B14022, 0x18024516
.long 0xD3B24004, 0x18024110
.long 0xD3B24006, 0x18024512
.long 0xBEC81E3E
.long 0x7E400304
.long 0x7E420305
	;; [unrolled: 19-line block ×15, first 2 shown]
.long 0x7EAC0306
.long 0x7EAE0307
	;; [unrolled: 1-line block ×5, first 2 shown]
.long 0xE07C1000, 0x80045409
.long 0xBF800000
.long 0x924A02FF, 0x00000100
.long 0xD135000B, 0x00009500
.long 0x24161682
.long 0xD9FE0000, 0x1000000B
.long 0xE05C1000, 0x8010140C
	;; [unrolled: 1-line block ×66, first 2 shown]
.long 0xBF800001
.long 0x0A30302C
	;; [unrolled: 1-line block ×66, first 2 shown]
.long 0xD0CC0034, 0x00010042
.long 0xD1000014, 0x00D228F2
.long 0xD1000015, 0x00D22AF2
.long 0xD3B14018, 0x18023114
.long 0xD0CC0034, 0x00010042
.long 0xD1000016, 0x00D22CF2
.long 0xD1000017, 0x00D22EF2
.long 0xD3B1401A, 0x18023516
.long 0xD3B24004, 0x18023110
.long 0xD3B24006, 0x18023512
.long 0xBEC81E3E
.long 0x7E300304
.long 0x7E320305
.long 0x7E340306
.long 0x7E360307
.long 0x924AB424
.long 0x80104A10
.long 0x82118011
.long 0xE07C1000, 0x80041809
.long 0xD0CC0034, 0x00010042
.long 0xD1000014, 0x00D228F2
.long 0xD1000015, 0x00D22AF2
.long 0xD3B1401C, 0x18023914
.long 0xD0CC0034, 0x00010042
.long 0xD1000016, 0x00D22CF2
.long 0xD1000017, 0x00D22EF2
.long 0xD3B1401E, 0x18023D16
.long 0xD3B24004, 0x18023910
.long 0xD3B24006, 0x18023D12
.long 0xBEC81E3E
.long 0x7E380304
.long 0x7E3A0305
.long 0x7E3C0306
.long 0x7E3E0307
.long 0x8E4A8224
.long 0x80104A10
.long 0x82118011
.long 0xE07C1000, 0x80041C09
	;; [unrolled: 19-line block ×16, first 2 shown]
.long 0xBF800000
.long 0x924A02FF, 0x00000100
.long 0xD135000B, 0x00009500
.long 0x24161682
.long 0xD9FE0000, 0x1000000B
.long 0xE05C1000, 0x8010140C
	;; [unrolled: 1-line block ×66, first 2 shown]
.long 0xBF800001
.long 0x0A30302C
	;; [unrolled: 1-line block ×66, first 2 shown]
.long 0xD0CC0034, 0x00010042
.long 0xD1000014, 0x00D228F2
.long 0xD1000015, 0x00D22AF2
.long 0xD3B14018, 0x18023114
.long 0xD0CC0034, 0x00010042
.long 0xD1000016, 0x00D22CF2
.long 0xD1000017, 0x00D22EF2
.long 0xD3B1401A, 0x18023516
.long 0xD3B24004, 0x18023110
.long 0xD3B24006, 0x18023512
.long 0xBEC81E3E
.long 0x7E300304
.long 0x7E320305
.long 0x7E340306
.long 0x7E360307
.long 0x924AB424
.long 0x80104A10
.long 0x82118011
.long 0xE07C1000, 0x80041809
.long 0xD0CC0034, 0x00010042
.long 0xD1000014, 0x00D228F2
.long 0xD1000015, 0x00D22AF2
.long 0xD3B1401C, 0x18023914
.long 0xD0CC0034, 0x00010042
.long 0xD1000016, 0x00D22CF2
.long 0xD1000017, 0x00D22EF2
.long 0xD3B1401E, 0x18023D16
.long 0xD3B24004, 0x18023910
.long 0xD3B24006, 0x18023D12
.long 0xBEC81E3E
.long 0x7E380304
.long 0x7E3A0305
.long 0x7E3C0306
.long 0x7E3E0307
.long 0x8E4A8224
.long 0x80104A10
.long 0x82118011
.long 0xE07C1000, 0x80041C09
	;; [unrolled: 19-line block ×16, first 2 shown]
.long 0xBF800000
.long 0x924A02FF, 0x00000100
.long 0xD135000B, 0x00009500
.long 0x24161682
.long 0xD9FE0000, 0x1000000B
.long 0xE05C1000, 0x8010140C
	;; [unrolled: 1-line block ×66, first 2 shown]
.long 0xBF800001
.long 0x0A30302C
	;; [unrolled: 1-line block ×66, first 2 shown]
.long 0xD0CC0034, 0x00010042
.long 0xD1000014, 0x00D228F2
.long 0xD1000015, 0x00D22AF2
.long 0xD3B14018, 0x18023114
.long 0xD0CC0034, 0x00010042
.long 0xD1000016, 0x00D22CF2
.long 0xD1000017, 0x00D22EF2
.long 0xD3B1401A, 0x18023516
.long 0xD3B24004, 0x18023110
.long 0xD3B24006, 0x18023512
.long 0xBEC81E3E
.long 0x7E300304
.long 0x7E320305
.long 0x7E340306
.long 0x7E360307
.long 0x924AB424
.long 0x80104A10
.long 0x82118011
.long 0xE07C1000, 0x80041809
.long 0xD0CC0034, 0x00010042
.long 0xD1000014, 0x00D228F2
.long 0xD1000015, 0x00D22AF2
.long 0xD3B1401C, 0x18023914
.long 0xD0CC0034, 0x00010042
.long 0xD1000016, 0x00D22CF2
.long 0xD1000017, 0x00D22EF2
.long 0xD3B1401E, 0x18023D16
.long 0xD3B24004, 0x18023910
.long 0xD3B24006, 0x18023D12
.long 0xBEC81E3E
.long 0x7E380304
.long 0x7E3A0305
.long 0x7E3C0306
.long 0x7E3E0307
.long 0x8E4A8224
.long 0x80104A10
.long 0x82118011
.long 0xE07C1000, 0x80041C09
	;; [unrolled: 19-line block ×16, first 2 shown]
.long 0xBF800000
.long 0xBF823265
.long 0x7EFA02FF, 0x80000000
.long 0xD0C9004A, 0x00003100
	;; [unrolled: 1-line block ×3, first 2 shown]
.long 0x86CE4E4A
.long 0x924A02FF, 0x00000100
.long 0xD135000A, 0x00009500
.long 0x24141482
.long 0xD100000A, 0x013A157D
.long 0xBF8CC07F
.long 0xBF8A0000
.long 0xD9FE0000, 0x0C00000A
.long 0x24160082
.long 0xE05C1000, 0x8010100B
.long 0xD1FE0009, 0x020A0103
	;; [unrolled: 1-line block ×8, first 2 shown]
.long 0x86CE4E4A
.long 0x924A02FF, 0x00000100
.long 0xD1350019, 0x00009500
.long 0x24323282
.long 0xD1000019, 0x013A337D
.long 0x24340082
.long 0xD1FE0018, 0x020A0103
.long 0xD1000018, 0x013A317D
.long 0xD1196A01, 0x00010301
.long 0xD1340002, 0x00004D02
.long 0xD1340003, 0x00004903
.long 0xD0C9004A, 0x00003100
.long 0xD0C9004E, 0x00003301
.long 0x86CE4E4A
.long 0x924A02FF, 0x00000100
.long 0xD1350020, 0x00009500
.long 0x24404082
.long 0xD1000020, 0x013A417D
.long 0x24420082
.long 0xD1FE001B, 0x020A0103
.long 0xD100001B, 0x013A377D
.long 0xD1196A01, 0x00010301
.long 0xD1340002, 0x00004D02
.long 0xD1340003, 0x00004903
.long 0xD0C9004A, 0x00003100
.long 0xD0C9004E, 0x00003301
.long 0x86CE4E4A
.long 0x924A02FF, 0x00000100
.long 0xD1350023, 0x00009500
.long 0x24464682
.long 0xD1000023, 0x013A477D
.long 0x24500082
.long 0xD1FE0022, 0x020A0103
.long 0xD1000022, 0x013A457D
.long 0xD1196A01, 0x00011B01
.long 0x924A8D26
.long 0xD1340002, 0x00009502
.long 0x924A8D24
.long 0xD1340003, 0x00009503
.long 0xD0C9004A, 0x00003100
.long 0xD0C9004E, 0x00003301
.long 0x86CE4E4A
.long 0x924A02FF, 0x00000100
.long 0xD135002A, 0x00009500
.long 0x24545482
.long 0xD100002A, 0x013A557D
.long 0x24560082
.long 0xD1FE0029, 0x020A0103
.long 0xD1000029, 0x013A537D
.long 0xD1196A01, 0x00010301
.long 0xD1340002, 0x00004D02
.long 0xD1340003, 0x00004903
.long 0xD0C9004A, 0x00003100
.long 0xD0C9004E, 0x00003301
.long 0x86CE4E4A
.long 0x924A02FF, 0x00000100
.long 0xD1350035, 0x00009500
.long 0x246A6A82
.long 0xD1000035, 0x013A6B7D
.long 0x246C0082
.long 0xD1FE0034, 0x020A0103
.long 0xD1000034, 0x013A697D
.long 0xD1196A01, 0x00010301
.long 0xD1340002, 0x00004D02
.long 0xD1340003, 0x00004903
.long 0xD0C9004A, 0x00003100
.long 0xD0C9004E, 0x00003301
.long 0x86CE4E4A
.long 0x924A02FF, 0x00000100
.long 0xD135003C, 0x00009500
.long 0x24787882
.long 0xD100003C, 0x013A797D
.long 0x247A0082
.long 0xD1FE0037, 0x020A0103
.long 0xD1000037, 0x013A6F7D
.long 0xD1196A01, 0x00010301
.long 0xD1340002, 0x00004D02
.long 0xD1340003, 0x00004903
.long 0xD0C9004A, 0x00003100
.long 0xD0C9004E, 0x00003301
.long 0x86CE4E4A
.long 0x924A02FF, 0x00000100
.long 0xD135003F, 0x00009500
.long 0x247E7E82
.long 0xD100003F, 0x013A7F7D
.long 0x24880082
.long 0xD1FE003E, 0x020A0103
.long 0xD100003E, 0x013A7D7D
.long 0xD1196A01, 0x00011B01
.long 0x924A8D26
.long 0xD1340002, 0x00009502
.long 0x924A8D24
.long 0xD1340003, 0x00009503
.long 0xD0C9004A, 0x00003100
.long 0xD0C9004E, 0x00003301
.long 0x86CE4E4A
.long 0x924A02FF, 0x00000100
.long 0xD1350046, 0x00009500
.long 0x248C8C82
.long 0xD1000046, 0x013A8D7D
.long 0x248E0082
.long 0xD1FE0045, 0x020A0103
.long 0xD1000045, 0x013A8B7D
.long 0xD1196A01, 0x00010301
.long 0xD1340002, 0x00004D02
.long 0xD1340003, 0x00004903
.long 0xD0C9004A, 0x00003100
.long 0xD0C9004E, 0x00003301
	;; [unrolled: 54-line block ×3, first 2 shown]
.long 0x86CE4E4A
.long 0x924A02FF, 0x00000100
.long 0xD135006D, 0x00009500
.long 0x24DADA82
.long 0xD100006D, 0x013ADB7D
.long 0x24DC0082
.long 0xD1FE006C, 0x020A0103
.long 0xD100006C, 0x013AD97D
.long 0xD1196A01, 0x00010301
.long 0xD1340002, 0x00004D02
.long 0xD1340003, 0x00004903
.long 0xD0C9004A, 0x00003100
.long 0xD0C9004E, 0x00003301
.long 0x86CE4E4A
.long 0x924A02FF, 0x00000100
.long 0xD1350074, 0x00009500
.long 0x24E8E882
.long 0xD1000074, 0x013AE97D
.long 0x24EA0082
.long 0xD1FE006F, 0x020A0103
.long 0xD100006F, 0x013ADF7D
.long 0xD1196A01, 0x00010301
.long 0xD1340002, 0x00004D02
.long 0xD1340003, 0x00004903
.long 0xD0C9004A, 0x00003100
.long 0xD0C9004E, 0x00003301
	;; [unrolled: 13-line block ×3, first 2 shown]
.long 0xD3D8401D, 0x18000105
.long 0xD3D8401E, 0x18000109
	;; [unrolled: 1-line block ×59, first 2 shown]
.long 0xBF800001
.long 0x0A28282C
	;; [unrolled: 1-line block ×66, first 2 shown]
.long 0xD0CC0034, 0x00010042
.long 0xD1000010, 0x00D220F2
.long 0xD1000011, 0x00D222F2
.long 0xD3B14014, 0x18022910
.long 0xD0CC0034, 0x00010042
.long 0xD1000012, 0x00D224F2
.long 0xD1000013, 0x00D226F2
.long 0xD3B14016, 0x18022D12
.long 0xD3B24004, 0x1802290C
.long 0xD3B24006, 0x18022D0E
.long 0xBEC81E3E
.long 0x7E280304
.long 0x7E2A0305
.long 0x7E2C0306
.long 0x7E2E0307
.long 0xE07C1000, 0x80041409
.long 0xD0CC0034, 0x00010042
.long 0xD1000010, 0x00D220F2
.long 0xD1000011, 0x00D222F2
.long 0xD3B1401C, 0x18023910
.long 0xD0CC0034, 0x00010042
.long 0xD1000012, 0x00D224F2
.long 0xD1000013, 0x00D226F2
.long 0xD3B1401E, 0x18023D12
.long 0xD3B24004, 0x1802390C
.long 0xD3B24006, 0x18023D0E
.long 0xBEC81E3E
.long 0x7E380304
.long 0x7E3A0305
.long 0x7E3C0306
.long 0x7E3E0307
.long 0xE07C1000, 0x80041C18
	;; [unrolled: 16-line block ×16, first 2 shown]
.long 0xBF800000
.long 0x7EFA02FF, 0x80000000
.long 0xD1196A01, 0x00011B01
.long 0x924A8D26
.long 0xD1340002, 0x00009502
.long 0x924A8D24
.long 0xD1340003, 0x00009503
.long 0xD0C9004A, 0x00003100
	;; [unrolled: 1-line block ×3, first 2 shown]
.long 0x86CE4E4A
.long 0x924A02FF, 0x00000100
.long 0xD135000A, 0x00009500
.long 0x24141482
.long 0xD100000A, 0x013A157D
.long 0xD9FE0000, 0x0C00000A
	;; [unrolled: 3-line block ×3, first 2 shown]
.long 0xD1000009, 0x013A137D
.long 0xD1196A01, 0x00010301
.long 0xD1340002, 0x00004D02
.long 0xD1340003, 0x00004903
.long 0xD0C9004A, 0x00003100
.long 0xD0C9004E, 0x00003301
.long 0x86CE4E4A
.long 0x924A02FF, 0x00000100
.long 0xD1350019, 0x00009500
.long 0x24323282
.long 0xD1000019, 0x013A337D
.long 0x24340082
.long 0xD1FE0018, 0x020A0103
.long 0xD1000018, 0x013A317D
.long 0xD1196A01, 0x00010301
.long 0xD1340002, 0x00004D02
.long 0xD1340003, 0x00004903
.long 0xD0C9004A, 0x00003100
.long 0xD0C9004E, 0x00003301
.long 0x86CE4E4A
.long 0x924A02FF, 0x00000100
.long 0xD1350020, 0x00009500
.long 0x24404082
.long 0xD1000020, 0x013A417D
.long 0x24420082
.long 0xD1FE001B, 0x020A0103
.long 0xD100001B, 0x013A377D
.long 0xD1196A01, 0x00010301
.long 0xD1340002, 0x00004D02
.long 0xD1340003, 0x00004903
.long 0xD0C9004A, 0x00003100
.long 0xD0C9004E, 0x00003301
.long 0x86CE4E4A
.long 0x924A02FF, 0x00000100
.long 0xD1350023, 0x00009500
.long 0x24464682
.long 0xD1000023, 0x013A477D
.long 0x24500082
.long 0xD1FE0022, 0x020A0103
.long 0xD1000022, 0x013A457D
.long 0xD1196A01, 0x00011B01
.long 0x924A8D26
.long 0xD1340002, 0x00009502
.long 0x924A8D24
.long 0xD1340003, 0x00009503
.long 0xD0C9004A, 0x00003100
.long 0xD0C9004E, 0x00003301
.long 0x86CE4E4A
.long 0x924A02FF, 0x00000100
.long 0xD135002A, 0x00009500
.long 0x24545482
.long 0xD100002A, 0x013A557D
.long 0x24560082
.long 0xD1FE0029, 0x020A0103
.long 0xD1000029, 0x013A537D
.long 0xD1196A01, 0x00010301
.long 0xD1340002, 0x00004D02
.long 0xD1340003, 0x00004903
.long 0xD0C9004A, 0x00003100
.long 0xD0C9004E, 0x00003301
.long 0x86CE4E4A
.long 0x924A02FF, 0x00000100
.long 0xD1350035, 0x00009500
.long 0x246A6A82
.long 0xD1000035, 0x013A6B7D
.long 0x246C0082
.long 0xD1FE0034, 0x020A0103
.long 0xD1000034, 0x013A697D
.long 0xD1196A01, 0x00010301
.long 0xD1340002, 0x00004D02
.long 0xD1340003, 0x00004903
.long 0xD0C9004A, 0x00003100
.long 0xD0C9004E, 0x00003301
.long 0x86CE4E4A
.long 0x924A02FF, 0x00000100
.long 0xD135003C, 0x00009500
.long 0x24787882
.long 0xD100003C, 0x013A797D
.long 0x247A0082
.long 0xD1FE0037, 0x020A0103
.long 0xD1000037, 0x013A6F7D
.long 0xD1196A01, 0x00010301
.long 0xD1340002, 0x00004D02
.long 0xD1340003, 0x00004903
.long 0xD0C9004A, 0x00003100
.long 0xD0C9004E, 0x00003301
.long 0x86CE4E4A
.long 0x924A02FF, 0x00000100
.long 0xD135003F, 0x00009500
.long 0x247E7E82
.long 0xD100003F, 0x013A7F7D
.long 0x24880082
.long 0xD1FE003E, 0x020A0103
.long 0xD100003E, 0x013A7D7D
.long 0xD1196A01, 0x00011B01
.long 0x924A8D26
.long 0xD1340002, 0x00009502
.long 0x924A8D24
.long 0xD1340003, 0x00009503
.long 0xD0C9004A, 0x00003100
.long 0xD0C9004E, 0x00003301
.long 0x86CE4E4A
.long 0x924A02FF, 0x00000100
.long 0xD1350046, 0x00009500
.long 0x248C8C82
.long 0xD1000046, 0x013A8D7D
.long 0x248E0082
.long 0xD1FE0045, 0x020A0103
	;; [unrolled: 54-line block ×3, first 2 shown]
.long 0xD1000061, 0x013AC37D
.long 0xD1196A01, 0x00010301
.long 0xD1340002, 0x00004D02
.long 0xD1340003, 0x00004903
.long 0xD0C9004A, 0x00003100
.long 0xD0C9004E, 0x00003301
.long 0x86CE4E4A
.long 0x924A02FF, 0x00000100
.long 0xD135006D, 0x00009500
.long 0x24DADA82
.long 0xD100006D, 0x013ADB7D
.long 0x24DC0082
.long 0xD1FE006C, 0x020A0103
.long 0xD100006C, 0x013AD97D
.long 0xD1196A01, 0x00010301
.long 0xD1340002, 0x00004D02
.long 0xD1340003, 0x00004903
.long 0xD0C9004A, 0x00003100
.long 0xD0C9004E, 0x00003301
.long 0x86CE4E4A
.long 0x924A02FF, 0x00000100
.long 0xD1350074, 0x00009500
.long 0x24E8E882
.long 0xD1000074, 0x013AE97D
.long 0x24EA0082
.long 0xD1FE006F, 0x020A0103
	;; [unrolled: 13-line block ×3, first 2 shown]
.long 0xD1000076, 0x013AED7D
.long 0xD3D84014, 0x18000140
	;; [unrolled: 1-line block ×65, first 2 shown]
.long 0xBF800001
.long 0x0A28282C
	;; [unrolled: 1-line block ×66, first 2 shown]
.long 0xD0CC0034, 0x00010042
.long 0xD1000010, 0x00D220F2
.long 0xD1000011, 0x00D222F2
.long 0xD3B14014, 0x18022910
.long 0xD0CC0034, 0x00010042
.long 0xD1000012, 0x00D224F2
.long 0xD1000013, 0x00D226F2
.long 0xD3B14016, 0x18022D12
.long 0xD3B24004, 0x1802290C
.long 0xD3B24006, 0x18022D0E
.long 0xBEC81E3E
.long 0x7E280304
.long 0x7E2A0305
.long 0x7E2C0306
.long 0x7E2E0307
.long 0xE07C1000, 0x80041409
.long 0xD0CC0034, 0x00010042
.long 0xD1000010, 0x00D220F2
.long 0xD1000011, 0x00D222F2
.long 0xD3B1401C, 0x18023910
.long 0xD0CC0034, 0x00010042
.long 0xD1000012, 0x00D224F2
.long 0xD1000013, 0x00D226F2
.long 0xD3B1401E, 0x18023D12
.long 0xD3B24004, 0x1802390C
.long 0xD3B24006, 0x18023D0E
.long 0xBEC81E3E
.long 0x7E380304
.long 0x7E3A0305
.long 0x7E3C0306
.long 0x7E3E0307
.long 0xE07C1000, 0x80041C18
	;; [unrolled: 16-line block ×16, first 2 shown]
.long 0xBF800000
.long 0x7EFA02FF, 0x80000000
.long 0xD1196A01, 0x00011B01
.long 0x924A8D26
.long 0xD1340002, 0x00009502
.long 0x924A8D24
.long 0xD1340003, 0x00009503
.long 0xD0C9004A, 0x00003100
	;; [unrolled: 1-line block ×3, first 2 shown]
.long 0x86CE4E4A
.long 0x924A02FF, 0x00000100
.long 0xD135000A, 0x00009500
.long 0x24141482
.long 0xD100000A, 0x013A157D
.long 0xD9FE0000, 0x0C00000A
	;; [unrolled: 3-line block ×3, first 2 shown]
.long 0xD1000009, 0x013A137D
.long 0xD1196A01, 0x00010301
.long 0xD1340002, 0x00004D02
.long 0xD1340003, 0x00004903
.long 0xD0C9004A, 0x00003100
.long 0xD0C9004E, 0x00003301
.long 0x86CE4E4A
.long 0x924A02FF, 0x00000100
.long 0xD1350019, 0x00009500
.long 0x24323282
.long 0xD1000019, 0x013A337D
.long 0x24340082
.long 0xD1FE0018, 0x020A0103
.long 0xD1000018, 0x013A317D
.long 0xD1196A01, 0x00010301
.long 0xD1340002, 0x00004D02
.long 0xD1340003, 0x00004903
.long 0xD0C9004A, 0x00003100
.long 0xD0C9004E, 0x00003301
.long 0x86CE4E4A
.long 0x924A02FF, 0x00000100
.long 0xD1350020, 0x00009500
.long 0x24404082
.long 0xD1000020, 0x013A417D
.long 0x24420082
.long 0xD1FE001B, 0x020A0103
.long 0xD100001B, 0x013A377D
.long 0xD1196A01, 0x00010301
.long 0xD1340002, 0x00004D02
.long 0xD1340003, 0x00004903
.long 0xD0C9004A, 0x00003100
.long 0xD0C9004E, 0x00003301
.long 0x86CE4E4A
.long 0x924A02FF, 0x00000100
.long 0xD1350023, 0x00009500
.long 0x24464682
.long 0xD1000023, 0x013A477D
.long 0x24500082
.long 0xD1FE0022, 0x020A0103
.long 0xD1000022, 0x013A457D
.long 0xD1196A01, 0x00011B01
.long 0x924A8D26
.long 0xD1340002, 0x00009502
.long 0x924A8D24
.long 0xD1340003, 0x00009503
.long 0xD0C9004A, 0x00003100
.long 0xD0C9004E, 0x00003301
.long 0x86CE4E4A
.long 0x924A02FF, 0x00000100
.long 0xD135002A, 0x00009500
.long 0x24545482
.long 0xD100002A, 0x013A557D
.long 0x24560082
.long 0xD1FE0029, 0x020A0103
.long 0xD1000029, 0x013A537D
.long 0xD1196A01, 0x00010301
.long 0xD1340002, 0x00004D02
.long 0xD1340003, 0x00004903
.long 0xD0C9004A, 0x00003100
.long 0xD0C9004E, 0x00003301
.long 0x86CE4E4A
.long 0x924A02FF, 0x00000100
.long 0xD1350035, 0x00009500
.long 0x246A6A82
.long 0xD1000035, 0x013A6B7D
.long 0x246C0082
.long 0xD1FE0034, 0x020A0103
.long 0xD1000034, 0x013A697D
.long 0xD1196A01, 0x00010301
.long 0xD1340002, 0x00004D02
.long 0xD1340003, 0x00004903
.long 0xD0C9004A, 0x00003100
.long 0xD0C9004E, 0x00003301
.long 0x86CE4E4A
.long 0x924A02FF, 0x00000100
.long 0xD135003C, 0x00009500
.long 0x24787882
.long 0xD100003C, 0x013A797D
.long 0x247A0082
.long 0xD1FE0037, 0x020A0103
.long 0xD1000037, 0x013A6F7D
.long 0xD1196A01, 0x00010301
.long 0xD1340002, 0x00004D02
.long 0xD1340003, 0x00004903
.long 0xD0C9004A, 0x00003100
.long 0xD0C9004E, 0x00003301
.long 0x86CE4E4A
.long 0x924A02FF, 0x00000100
.long 0xD135003F, 0x00009500
.long 0x247E7E82
.long 0xD100003F, 0x013A7F7D
.long 0x24880082
.long 0xD1FE003E, 0x020A0103
.long 0xD100003E, 0x013A7D7D
.long 0xD1196A01, 0x00011B01
.long 0x924A8D26
.long 0xD1340002, 0x00009502
.long 0x924A8D24
.long 0xD1340003, 0x00009503
.long 0xD0C9004A, 0x00003100
.long 0xD0C9004E, 0x00003301
.long 0x86CE4E4A
.long 0x924A02FF, 0x00000100
.long 0xD1350046, 0x00009500
.long 0x248C8C82
.long 0xD1000046, 0x013A8D7D
.long 0x248E0082
.long 0xD1FE0045, 0x020A0103
	;; [unrolled: 54-line block ×3, first 2 shown]
.long 0xD1000061, 0x013AC37D
.long 0xD1196A01, 0x00010301
.long 0xD1340002, 0x00004D02
.long 0xD1340003, 0x00004903
.long 0xD0C9004A, 0x00003100
.long 0xD0C9004E, 0x00003301
.long 0x86CE4E4A
.long 0x924A02FF, 0x00000100
.long 0xD135006D, 0x00009500
.long 0x24DADA82
.long 0xD100006D, 0x013ADB7D
.long 0x24DC0082
.long 0xD1FE006C, 0x020A0103
.long 0xD100006C, 0x013AD97D
.long 0xD1196A01, 0x00010301
.long 0xD1340002, 0x00004D02
.long 0xD1340003, 0x00004903
.long 0xD0C9004A, 0x00003100
.long 0xD0C9004E, 0x00003301
.long 0x86CE4E4A
.long 0x924A02FF, 0x00000100
.long 0xD1350074, 0x00009500
.long 0x24E8E882
.long 0xD1000074, 0x013AE97D
.long 0x24EA0082
.long 0xD1FE006F, 0x020A0103
	;; [unrolled: 13-line block ×3, first 2 shown]
.long 0xD1000076, 0x013AED7D
.long 0xD3D84014, 0x18000180
	;; [unrolled: 1-line block ×65, first 2 shown]
.long 0xBF800001
.long 0x0A28282C
	;; [unrolled: 1-line block ×66, first 2 shown]
.long 0xD0CC0034, 0x00010042
.long 0xD1000010, 0x00D220F2
.long 0xD1000011, 0x00D222F2
.long 0xD3B14014, 0x18022910
.long 0xD0CC0034, 0x00010042
.long 0xD1000012, 0x00D224F2
.long 0xD1000013, 0x00D226F2
.long 0xD3B14016, 0x18022D12
.long 0xD3B24004, 0x1802290C
.long 0xD3B24006, 0x18022D0E
.long 0xBEC81E3E
.long 0x7E280304
.long 0x7E2A0305
.long 0x7E2C0306
.long 0x7E2E0307
.long 0xE07C1000, 0x80041409
.long 0xD0CC0034, 0x00010042
.long 0xD1000010, 0x00D220F2
.long 0xD1000011, 0x00D222F2
.long 0xD3B1401C, 0x18023910
.long 0xD0CC0034, 0x00010042
.long 0xD1000012, 0x00D224F2
.long 0xD1000013, 0x00D226F2
.long 0xD3B1401E, 0x18023D12
.long 0xD3B24004, 0x1802390C
.long 0xD3B24006, 0x18023D0E
.long 0xBEC81E3E
.long 0x7E380304
.long 0x7E3A0305
.long 0x7E3C0306
.long 0x7E3E0307
.long 0xE07C1000, 0x80041C18
	;; [unrolled: 16-line block ×16, first 2 shown]
.long 0xBF800000
.long 0x7EFA02FF, 0x80000000
.long 0xD1196A01, 0x00011B01
.long 0x924A8D26
.long 0xD1340002, 0x00009502
.long 0x924A8D24
.long 0xD1340003, 0x00009503
.long 0xD0C9004A, 0x00003100
	;; [unrolled: 1-line block ×3, first 2 shown]
.long 0x86CE4E4A
.long 0x924A02FF, 0x00000100
.long 0xD135000A, 0x00009500
.long 0x24141482
.long 0xD100000A, 0x013A157D
.long 0xD9FE0000, 0x0C00000A
	;; [unrolled: 3-line block ×3, first 2 shown]
.long 0xD1000009, 0x013A137D
.long 0xD1196A01, 0x00010301
.long 0xD1340002, 0x00004D02
.long 0xD1340003, 0x00004903
.long 0xD0C9004A, 0x00003100
.long 0xD0C9004E, 0x00003301
.long 0x86CE4E4A
.long 0x924A02FF, 0x00000100
.long 0xD1350019, 0x00009500
.long 0x24323282
.long 0xD1000019, 0x013A337D
.long 0x24340082
.long 0xD1FE0018, 0x020A0103
.long 0xD1000018, 0x013A317D
.long 0xD1196A01, 0x00010301
.long 0xD1340002, 0x00004D02
.long 0xD1340003, 0x00004903
.long 0xD0C9004A, 0x00003100
.long 0xD0C9004E, 0x00003301
.long 0x86CE4E4A
.long 0x924A02FF, 0x00000100
.long 0xD1350020, 0x00009500
.long 0x24404082
.long 0xD1000020, 0x013A417D
.long 0x24420082
.long 0xD1FE001B, 0x020A0103
.long 0xD100001B, 0x013A377D
.long 0xD1196A01, 0x00010301
.long 0xD1340002, 0x00004D02
.long 0xD1340003, 0x00004903
.long 0xD0C9004A, 0x00003100
.long 0xD0C9004E, 0x00003301
.long 0x86CE4E4A
.long 0x924A02FF, 0x00000100
.long 0xD1350023, 0x00009500
.long 0x24464682
.long 0xD1000023, 0x013A477D
.long 0x24500082
.long 0xD1FE0022, 0x020A0103
.long 0xD1000022, 0x013A457D
.long 0xD1196A01, 0x00011B01
.long 0x924A8D26
.long 0xD1340002, 0x00009502
.long 0x924A8D24
.long 0xD1340003, 0x00009503
.long 0xD0C9004A, 0x00003100
.long 0xD0C9004E, 0x00003301
.long 0x86CE4E4A
.long 0x924A02FF, 0x00000100
.long 0xD135002A, 0x00009500
.long 0x24545482
.long 0xD100002A, 0x013A557D
.long 0x24560082
.long 0xD1FE0029, 0x020A0103
.long 0xD1000029, 0x013A537D
.long 0xD1196A01, 0x00010301
.long 0xD1340002, 0x00004D02
.long 0xD1340003, 0x00004903
.long 0xD0C9004A, 0x00003100
.long 0xD0C9004E, 0x00003301
.long 0x86CE4E4A
.long 0x924A02FF, 0x00000100
.long 0xD1350035, 0x00009500
.long 0x246A6A82
.long 0xD1000035, 0x013A6B7D
.long 0x246C0082
.long 0xD1FE0034, 0x020A0103
.long 0xD1000034, 0x013A697D
.long 0xD1196A01, 0x00010301
.long 0xD1340002, 0x00004D02
.long 0xD1340003, 0x00004903
.long 0xD0C9004A, 0x00003100
.long 0xD0C9004E, 0x00003301
.long 0x86CE4E4A
.long 0x924A02FF, 0x00000100
.long 0xD135003C, 0x00009500
.long 0x24787882
.long 0xD100003C, 0x013A797D
.long 0x247A0082
.long 0xD1FE0037, 0x020A0103
.long 0xD1000037, 0x013A6F7D
.long 0xD1196A01, 0x00010301
.long 0xD1340002, 0x00004D02
.long 0xD1340003, 0x00004903
.long 0xD0C9004A, 0x00003100
.long 0xD0C9004E, 0x00003301
.long 0x86CE4E4A
.long 0x924A02FF, 0x00000100
.long 0xD135003F, 0x00009500
.long 0x247E7E82
.long 0xD100003F, 0x013A7F7D
.long 0x24880082
.long 0xD1FE003E, 0x020A0103
.long 0xD100003E, 0x013A7D7D
.long 0xD1196A01, 0x00011B01
.long 0x924A8D26
.long 0xD1340002, 0x00009502
.long 0x924A8D24
.long 0xD1340003, 0x00009503
.long 0xD0C9004A, 0x00003100
.long 0xD0C9004E, 0x00003301
.long 0x86CE4E4A
.long 0x924A02FF, 0x00000100
.long 0xD1350046, 0x00009500
.long 0x248C8C82
.long 0xD1000046, 0x013A8D7D
.long 0x248E0082
.long 0xD1FE0045, 0x020A0103
	;; [unrolled: 54-line block ×3, first 2 shown]
.long 0xD1000061, 0x013AC37D
.long 0xD1196A01, 0x00010301
.long 0xD1340002, 0x00004D02
.long 0xD1340003, 0x00004903
.long 0xD0C9004A, 0x00003100
.long 0xD0C9004E, 0x00003301
.long 0x86CE4E4A
.long 0x924A02FF, 0x00000100
.long 0xD135006D, 0x00009500
.long 0x24DADA82
.long 0xD100006D, 0x013ADB7D
.long 0x24DC0082
.long 0xD1FE006C, 0x020A0103
.long 0xD100006C, 0x013AD97D
.long 0xD1196A01, 0x00010301
.long 0xD1340002, 0x00004D02
.long 0xD1340003, 0x00004903
.long 0xD0C9004A, 0x00003100
.long 0xD0C9004E, 0x00003301
.long 0x86CE4E4A
.long 0x924A02FF, 0x00000100
.long 0xD1350074, 0x00009500
.long 0x24E8E882
.long 0xD1000074, 0x013AE97D
.long 0x24EA0082
.long 0xD1FE006F, 0x020A0103
	;; [unrolled: 13-line block ×3, first 2 shown]
.long 0xD1000076, 0x013AED7D
.long 0xD3D84014, 0x180001C0
	;; [unrolled: 1-line block ×65, first 2 shown]
.long 0xBF800001
.long 0x0A28282C
	;; [unrolled: 1-line block ×66, first 2 shown]
.long 0xD0CC0034, 0x00010042
.long 0xD1000010, 0x00D220F2
.long 0xD1000011, 0x00D222F2
.long 0xD3B14014, 0x18022910
.long 0xD0CC0034, 0x00010042
.long 0xD1000012, 0x00D224F2
.long 0xD1000013, 0x00D226F2
.long 0xD3B14016, 0x18022D12
.long 0xD3B24004, 0x1802290C
.long 0xD3B24006, 0x18022D0E
.long 0xBEC81E3E
.long 0x7E280304
.long 0x7E2A0305
.long 0x7E2C0306
.long 0x7E2E0307
.long 0xE07C1000, 0x80041409
.long 0xD0CC0034, 0x00010042
.long 0xD1000010, 0x00D220F2
.long 0xD1000011, 0x00D222F2
.long 0xD3B1401C, 0x18023910
.long 0xD0CC0034, 0x00010042
.long 0xD1000012, 0x00D224F2
.long 0xD1000013, 0x00D226F2
.long 0xD3B1401E, 0x18023D12
.long 0xD3B24004, 0x1802390C
.long 0xD3B24006, 0x18023D0E
.long 0xBEC81E3E
.long 0x7E380304
.long 0x7E3A0305
.long 0x7E3C0306
.long 0x7E3E0307
.long 0xE07C1000, 0x80041C18
	;; [unrolled: 16-line block ×16, first 2 shown]
.long 0xBF800000
.long 0xBF8222A6
.long 0x864A18FF, 0x000000FF
.long 0x804B0DC1
.long 0xBF094B02
	;; [unrolled: 1-line block ×5, first 2 shown]
.long 0x864A19FF, 0x000000FF
.long 0x804B0EC1
.long 0xBF094B03
	;; [unrolled: 1-line block ×5, first 2 shown]
.long 0xD1FE000A, 0x020A0102
.long 0xE05C1000, 0x8005100A
	;; [unrolled: 1-line block ×4, first 2 shown]
.long 0x24161682
.long 0xBF8CC07F
	;; [unrolled: 1-line block ×3, first 2 shown]
.long 0xD9FE0000, 0x1400000B
.long 0x24180082
.long 0xE05C1000, 0x8010180C
.long 0x8E4A8226
.long 0x80144A14
.long 0x82158015
.long 0xE05C1000, 0x8005200A
.long 0x8E4A8226
.long 0x80144A14
	;; [unrolled: 4-line block ×13, first 2 shown]
.long 0x82158015
.long 0xE05C1000, 0x8005800A
.long 0xD1FE0009, 0x020A0103
	;; [unrolled: 1-line block ×58, first 2 shown]
.long 0xBF800001
.long 0x0A38382C
	;; [unrolled: 1-line block ×58, first 2 shown]
.long 0xD0CC0034, 0x00010042
.long 0xD1000018, 0x00D230F2
	;; [unrolled: 1-line block ×14, first 2 shown]
.long 0xBEC81E3E
.long 0x7E380304
.long 0x7E3A0305
.long 0x7E3C0306
.long 0x7E3E0307
.long 0xE07C1000, 0x80041C09
.long 0xBF8C0F7D
.long 0xD0CC0034, 0x00010042
.long 0xD1000018, 0x00D230F2
.long 0xD1000019, 0x00D232F2
.long 0xD3B14024, 0x18024918
.long 0xD0CC0034, 0x00010042
.long 0xD100001A, 0x00D234F2
.long 0xD100001B, 0x00D236F2
.long 0xD3B14026, 0x18024D1A
.long 0xD13B0024, 0x00005B20
.long 0xD13B0025, 0x00005B21
.long 0xD13B0026, 0x00005B22
.long 0xD13B0027, 0x00005B23
.long 0xD3B24004, 0x18024914
.long 0xD3B24006, 0x18024D16
.long 0xBEC81E3E
.long 0x7E480304
.long 0x7E4A0305
.long 0x7E4C0306
.long 0x7E4E0307
.long 0x8E4A8224
.long 0x80104A10
.long 0x82118011
.long 0xE07C1000, 0x80042409
.long 0xBF8C0F7D
.long 0xD0CC0034, 0x00010042
.long 0xD1000018, 0x00D230F2
.long 0xD1000019, 0x00D232F2
.long 0xD3B1402C, 0x18025918
.long 0xD0CC0034, 0x00010042
.long 0xD100001A, 0x00D234F2
.long 0xD100001B, 0x00D236F2
.long 0xD3B1402E, 0x18025D1A
.long 0xD13B002C, 0x00005B28
.long 0xD13B002D, 0x00005B29
.long 0xD13B002E, 0x00005B2A
.long 0xD13B002F, 0x00005B2B
.long 0xD3B24004, 0x18025914
.long 0xD3B24006, 0x18025D16
.long 0xBEC81E3E
.long 0x7E580304
.long 0x7E5A0305
	;; [unrolled: 24-line block ×13, first 2 shown]
.long 0x7F0C0306
.long 0x7F0E0307
	;; [unrolled: 1-line block ×5, first 2 shown]
.long 0xE07C1000, 0x80048409
.long 0xBF800000
.long 0x8E4A8226
	;; [unrolled: 1-line block ×4, first 2 shown]
.long 0xE05C1000, 0x8005100A
.long 0x924A02FF, 0x00000100
	;; [unrolled: 1-line block ×3, first 2 shown]
.long 0x24161682
.long 0xD9FE0000, 0x1400000B
.long 0xE05C1000, 0x8010180C
.long 0x8E4A8226
.long 0x80144A14
.long 0x82158015
.long 0xE05C1000, 0x8005200A
.long 0x924AB426
.long 0x80144A14
.long 0x82158015
	;; [unrolled: 4-line block ×13, first 2 shown]
.long 0xE05C1000, 0x8005800A
.long 0xD3D8401C, 0x18000132
	;; [unrolled: 1-line block ×57, first 2 shown]
.long 0xBF800001
.long 0x0A38382C
	;; [unrolled: 1-line block ×58, first 2 shown]
.long 0xD0CC0034, 0x00010042
.long 0xD1000018, 0x00D230F2
.long 0xD1000019, 0x00D232F2
.long 0xD3B1401C, 0x18023918
.long 0xD0CC0034, 0x00010042
.long 0xD100001A, 0x00D234F2
.long 0xD100001B, 0x00D236F2
.long 0xD3B1401E, 0x18023D1A
.long 0xD13B001C, 0x00005B10
.long 0xD13B001D, 0x00005B11
.long 0xD13B001E, 0x00005B12
.long 0xD13B001F, 0x00005B13
.long 0xD3B24004, 0x18023914
.long 0xD3B24006, 0x18023D16
.long 0xBEC81E3E
.long 0x7E380304
.long 0x7E3A0305
.long 0x7E3C0306
.long 0x7E3E0307
.long 0x8E4A8224
.long 0x80104A10
.long 0x82118011
.long 0xE07C1000, 0x80041C09
.long 0xBF8C0F7D
.long 0xD0CC0034, 0x00010042
.long 0xD1000018, 0x00D230F2
.long 0xD1000019, 0x00D232F2
.long 0xD3B14024, 0x18024918
.long 0xD0CC0034, 0x00010042
.long 0xD100001A, 0x00D234F2
.long 0xD100001B, 0x00D236F2
.long 0xD3B14026, 0x18024D1A
.long 0xD13B0024, 0x00005B20
.long 0xD13B0025, 0x00005B21
.long 0xD13B0026, 0x00005B22
.long 0xD13B0027, 0x00005B23
.long 0xD3B24004, 0x18024914
.long 0xD3B24006, 0x18024D16
.long 0xBEC81E3E
.long 0x7E480304
.long 0x7E4A0305
.long 0x7E4C0306
.long 0x7E4E0307
.long 0x8E4A8224
.long 0x80104A10
.long 0x82118011
.long 0xE07C1000, 0x80042409
.long 0xBF8C0F7D
	;; [unrolled: 24-line block ×14, first 2 shown]
.long 0x924AB426
.long 0x80144A14
	;; [unrolled: 1-line block ×3, first 2 shown]
.long 0xE05C1000, 0x8005100A
.long 0x924A02FF, 0x00000100
	;; [unrolled: 1-line block ×3, first 2 shown]
.long 0x24161682
.long 0xD9FE0000, 0x1400000B
.long 0xE05C1000, 0x8010180C
.long 0x8E4A8226
.long 0x80144A14
.long 0x82158015
.long 0xE05C1000, 0x8005200A
.long 0x8E4A8226
.long 0x80144A14
.long 0x82158015
	;; [unrolled: 4-line block ×13, first 2 shown]
.long 0xE05C1000, 0x8005800A
.long 0xD3D8401C, 0x18000170
.long 0xD3D8401D, 0x18000174
.long 0xD3D8401E, 0x18000178
.long 0xD3D8401F, 0x1800017C
.long 0xD3D84024, 0x18000171
.long 0xD3D84025, 0x18000175
.long 0xD3D84026, 0x18000179
.long 0xD3D84027, 0x1800017D
.long 0xD3D8402C, 0x18000172
.long 0xD3D8402D, 0x18000176
.long 0xD3D8402E, 0x1800017A
.long 0xD3D8402F, 0x1800017E
.long 0xD3D84034, 0x18000173
.long 0xD3D84035, 0x18000177
.long 0xD3D84036, 0x1800017B
.long 0xD3D84037, 0x1800017F
.long 0xD3D8403C, 0x18000180
.long 0xD3D8403D, 0x18000184
.long 0xD3D8403E, 0x18000188
.long 0xD3D8403F, 0x1800018C
.long 0xD3D84044, 0x18000181
.long 0xD3D84045, 0x18000185
.long 0xD3D84046, 0x18000189
.long 0xD3D84047, 0x1800018D
.long 0xD3D8404C, 0x18000182
.long 0xD3D8404D, 0x18000186
.long 0xD3D8404E, 0x1800018A
.long 0xD3D8404F, 0x1800018E
.long 0xD3D84054, 0x18000183
.long 0xD3D84055, 0x18000187
.long 0xD3D84056, 0x1800018B
.long 0xD3D84057, 0x1800018F
.long 0xD3D8405C, 0x18000190
.long 0xD3D8405D, 0x18000194
.long 0xD3D8405E, 0x18000198
.long 0xD3D8405F, 0x1800019C
.long 0xD3D84064, 0x18000191
.long 0xD3D84065, 0x18000195
.long 0xD3D84066, 0x18000199
.long 0xD3D84067, 0x1800019D
.long 0xD3D8406C, 0x18000192
.long 0xD3D8406D, 0x18000196
.long 0xD3D8406E, 0x1800019A
.long 0xD3D8406F, 0x1800019E
.long 0xD3D84074, 0x18000193
.long 0xD3D84075, 0x18000197
.long 0xD3D84076, 0x1800019B
.long 0xD3D84077, 0x1800019F
.long 0xD3D8407C, 0x180001A0
.long 0xD3D8407D, 0x180001A4
.long 0xD3D8407E, 0x180001A8
.long 0xD3D8407F, 0x180001AC
.long 0xD3D84084, 0x180001A1
.long 0xD3D84085, 0x180001A5
.long 0xD3D84086, 0x180001A9
.long 0xD3D84087, 0x180001AD
.long 0xBF800001
.long 0x0A38382C
.long 0x0A3A3A2C
.long 0x0A3C3C2C
.long 0x0A3E3E2C
.long 0x0A48482C
.long 0x0A4A4A2C
.long 0x0A4C4C2C
.long 0x0A4E4E2C
.long 0x0A58582C
.long 0x0A5A5A2C
.long 0x0A5C5C2C
.long 0x0A5E5E2C
.long 0x0A68682C
.long 0x0A6A6A2C
.long 0x0A6C6C2C
.long 0x0A6E6E2C
.long 0x0A78782C
.long 0x0A7A7A2C
.long 0x0A7C7C2C
.long 0x0A7E7E2C
.long 0x0A88882C
.long 0x0A8A8A2C
.long 0x0A8C8C2C
.long 0x0A8E8E2C
.long 0x0A98982C
.long 0x0A9A9A2C
.long 0x0A9C9C2C
.long 0x0A9E9E2C
.long 0x0AA8A82C
.long 0x0AAAAA2C
.long 0x0AACAC2C
.long 0x0AAEAE2C
.long 0x0AB8B82C
.long 0x0ABABA2C
.long 0x0ABCBC2C
.long 0x0ABEBE2C
.long 0x0AC8C82C
.long 0x0ACACA2C
.long 0x0ACCCC2C
.long 0x0ACECE2C
.long 0x0AD8D82C
.long 0x0ADADA2C
.long 0x0ADCDC2C
.long 0x0ADEDE2C
.long 0x0AE8E82C
.long 0x0AEAEA2C
.long 0x0AECEC2C
.long 0x0AEEEE2C
.long 0x0AF8F82C
.long 0x0AFAFA2C
.long 0x0AFCFC2C
.long 0x0AFEFE2C
.long 0x0B09082C
.long 0x0B0B0A2C
.long 0x0B0D0C2C
.long 0x0B0F0E2C
.long 0xBF8C007D
.long 0xD0CC0034, 0x00010042
.long 0xD1000018, 0x00D230F2
.long 0xD1000019, 0x00D232F2
.long 0xD3B1401C, 0x18023918
.long 0xD0CC0034, 0x00010042
.long 0xD100001A, 0x00D234F2
.long 0xD100001B, 0x00D236F2
.long 0xD3B1401E, 0x18023D1A
.long 0xD13B001C, 0x00005B10
.long 0xD13B001D, 0x00005B11
.long 0xD13B001E, 0x00005B12
.long 0xD13B001F, 0x00005B13
.long 0xD3B24004, 0x18023914
.long 0xD3B24006, 0x18023D16
.long 0xBEC81E3E
.long 0x7E380304
.long 0x7E3A0305
.long 0x7E3C0306
.long 0x7E3E0307
.long 0x924AB424
.long 0x80104A10
.long 0x82118011
.long 0xE07C1000, 0x80041C09
.long 0xBF8C0F7D
.long 0xD0CC0034, 0x00010042
.long 0xD1000018, 0x00D230F2
.long 0xD1000019, 0x00D232F2
.long 0xD3B14024, 0x18024918
.long 0xD0CC0034, 0x00010042
.long 0xD100001A, 0x00D234F2
.long 0xD100001B, 0x00D236F2
.long 0xD3B14026, 0x18024D1A
.long 0xD13B0024, 0x00005B20
.long 0xD13B0025, 0x00005B21
.long 0xD13B0026, 0x00005B22
.long 0xD13B0027, 0x00005B23
.long 0xD3B24004, 0x18024914
.long 0xD3B24006, 0x18024D16
.long 0xBEC81E3E
.long 0x7E480304
.long 0x7E4A0305
.long 0x7E4C0306
.long 0x7E4E0307
.long 0x8E4A8224
.long 0x80104A10
.long 0x82118011
.long 0xE07C1000, 0x80042409
.long 0xBF8C0F7D
	;; [unrolled: 24-line block ×14, first 2 shown]
.long 0x8E4A8226
.long 0x80144A14
	;; [unrolled: 1-line block ×3, first 2 shown]
.long 0xE05C1000, 0x8005100A
.long 0x924A02FF, 0x00000100
	;; [unrolled: 1-line block ×3, first 2 shown]
.long 0x24161682
.long 0xD9FE0000, 0x1400000B
.long 0xE05C1000, 0x8010180C
.long 0x8E4A8226
.long 0x80144A14
.long 0x82158015
.long 0xE05C1000, 0x8005200A
.long 0x924AB426
.long 0x80144A14
.long 0x82158015
	;; [unrolled: 4-line block ×13, first 2 shown]
.long 0xE05C1000, 0x8005800A
.long 0xD3D8401C, 0x180001A2
.long 0xD3D8401D, 0x180001A6
.long 0xD3D8401E, 0x180001AA
.long 0xD3D8401F, 0x180001AE
.long 0xD3D84024, 0x180001A3
.long 0xD3D84025, 0x180001A7
.long 0xD3D84026, 0x180001AB
.long 0xD3D84027, 0x180001AF
.long 0xD3D8402C, 0x180001B0
.long 0xD3D8402D, 0x180001B4
.long 0xD3D8402E, 0x180001B8
.long 0xD3D8402F, 0x180001BC
.long 0xD3D84034, 0x180001B1
.long 0xD3D84035, 0x180001B5
.long 0xD3D84036, 0x180001B9
.long 0xD3D84037, 0x180001BD
.long 0xD3D8403C, 0x180001B2
.long 0xD3D8403D, 0x180001B6
.long 0xD3D8403E, 0x180001BA
.long 0xD3D8403F, 0x180001BE
.long 0xD3D84044, 0x180001B3
.long 0xD3D84045, 0x180001B7
.long 0xD3D84046, 0x180001BB
.long 0xD3D84047, 0x180001BF
.long 0xD3D8404C, 0x180001C0
.long 0xD3D8404D, 0x180001C4
.long 0xD3D8404E, 0x180001C8
.long 0xD3D8404F, 0x180001CC
.long 0xD3D84054, 0x180001C1
.long 0xD3D84055, 0x180001C5
.long 0xD3D84056, 0x180001C9
.long 0xD3D84057, 0x180001CD
.long 0xD3D8405C, 0x180001C2
.long 0xD3D8405D, 0x180001C6
.long 0xD3D8405E, 0x180001CA
.long 0xD3D8405F, 0x180001CE
.long 0xD3D84064, 0x180001C3
.long 0xD3D84065, 0x180001C7
.long 0xD3D84066, 0x180001CB
.long 0xD3D84067, 0x180001CF
.long 0xD3D8406C, 0x180001D0
.long 0xD3D8406D, 0x180001D4
.long 0xD3D8406E, 0x180001D8
.long 0xD3D8406F, 0x180001DC
.long 0xD3D84074, 0x180001D1
.long 0xD3D84075, 0x180001D5
.long 0xD3D84076, 0x180001D9
.long 0xD3D84077, 0x180001DD
.long 0xD3D8407C, 0x180001D2
.long 0xD3D8407D, 0x180001D6
.long 0xD3D8407E, 0x180001DA
.long 0xD3D8407F, 0x180001DE
.long 0xD3D84084, 0x180001D3
.long 0xD3D84085, 0x180001D7
.long 0xD3D84086, 0x180001DB
.long 0xD3D84087, 0x180001DF
.long 0xBF800001
.long 0x0A38382C
	;; [unrolled: 1-line block ×58, first 2 shown]
.long 0xD0CC0034, 0x00010042
.long 0xD1000018, 0x00D230F2
.long 0xD1000019, 0x00D232F2
.long 0xD3B1401C, 0x18023918
.long 0xD0CC0034, 0x00010042
.long 0xD100001A, 0x00D234F2
.long 0xD100001B, 0x00D236F2
.long 0xD3B1401E, 0x18023D1A
.long 0xD13B001C, 0x00005B10
.long 0xD13B001D, 0x00005B11
.long 0xD13B001E, 0x00005B12
.long 0xD13B001F, 0x00005B13
.long 0xD3B24004, 0x18023914
.long 0xD3B24006, 0x18023D16
.long 0xBEC81E3E
.long 0x7E380304
.long 0x7E3A0305
.long 0x7E3C0306
.long 0x7E3E0307
.long 0x8E4A8224
.long 0x80104A10
.long 0x82118011
.long 0xE07C1000, 0x80041C09
.long 0xBF8C0F7D
.long 0xD0CC0034, 0x00010042
.long 0xD1000018, 0x00D230F2
.long 0xD1000019, 0x00D232F2
.long 0xD3B14024, 0x18024918
.long 0xD0CC0034, 0x00010042
.long 0xD100001A, 0x00D234F2
.long 0xD100001B, 0x00D236F2
.long 0xD3B14026, 0x18024D1A
.long 0xD13B0024, 0x00005B20
.long 0xD13B0025, 0x00005B21
.long 0xD13B0026, 0x00005B22
.long 0xD13B0027, 0x00005B23
.long 0xD3B24004, 0x18024914
.long 0xD3B24006, 0x18024D16
.long 0xBEC81E3E
.long 0x7E480304
.long 0x7E4A0305
.long 0x7E4C0306
.long 0x7E4E0307
.long 0x8E4A8224
.long 0x80104A10
.long 0x82118011
.long 0xE07C1000, 0x80042409
.long 0xBF8C0F7D
	;; [unrolled: 24-line block ×14, first 2 shown]
.long 0x924AB426
.long 0x80144A14
	;; [unrolled: 1-line block ×3, first 2 shown]
.long 0xE05C1000, 0x8005100A
.long 0x924A02FF, 0x00000100
	;; [unrolled: 1-line block ×3, first 2 shown]
.long 0x24161682
.long 0xD9FE0000, 0x1400000B
.long 0xE05C1000, 0x8010180C
.long 0x8E4A8226
.long 0x80144A14
.long 0x82158015
.long 0xE05C1000, 0x8005200A
.long 0x8E4A8226
.long 0x80144A14
.long 0x82158015
	;; [unrolled: 4-line block ×7, first 2 shown]
.long 0xE05C1000, 0x8005500A
.long 0xD3D8401C, 0x180001E0
.long 0xD3D8401D, 0x180001E4
.long 0xD3D8401E, 0x180001E8
.long 0xD3D8401F, 0x180001EC
.long 0xD3D84024, 0x180001E1
.long 0xD3D84025, 0x180001E5
.long 0xD3D84026, 0x180001E9
.long 0xD3D84027, 0x180001ED
.long 0xD3D8402C, 0x180001E2
.long 0xD3D8402D, 0x180001E6
.long 0xD3D8402E, 0x180001EA
.long 0xD3D8402F, 0x180001EE
.long 0xD3D84034, 0x180001E3
.long 0xD3D84035, 0x180001E7
.long 0xD3D84036, 0x180001EB
.long 0xD3D84037, 0x180001EF
.long 0xD3D8403C, 0x180001F0
.long 0xD3D8403D, 0x180001F4
.long 0xD3D8403E, 0x180001F8
.long 0xD3D8403F, 0x180001FC
.long 0xD3D84044, 0x180001F1
.long 0xD3D84045, 0x180001F5
.long 0xD3D84046, 0x180001F9
.long 0xD3D84047, 0x180001FD
.long 0xD3D8404C, 0x180001F2
.long 0xD3D8404D, 0x180001F6
.long 0xD3D8404E, 0x180001FA
.long 0xD3D8404F, 0x180001FE
.long 0xD3D84054, 0x180001F3
.long 0xD3D84055, 0x180001F7
.long 0xD3D84056, 0x180001FB
.long 0xD3D84057, 0x180001FF
.long 0xBF800001
.long 0x0A38382C
	;; [unrolled: 1-line block ×34, first 2 shown]
.long 0xD0CC0034, 0x00010042
.long 0xD1000018, 0x00D230F2
.long 0xD1000019, 0x00D232F2
.long 0xD3B1401C, 0x18023918
.long 0xD0CC0034, 0x00010042
.long 0xD100001A, 0x00D234F2
.long 0xD100001B, 0x00D236F2
.long 0xD3B1401E, 0x18023D1A
.long 0xD13B001C, 0x00005B10
.long 0xD13B001D, 0x00005B11
.long 0xD13B001E, 0x00005B12
.long 0xD13B001F, 0x00005B13
.long 0xD3B24004, 0x18023914
.long 0xD3B24006, 0x18023D16
.long 0xBEC81E3E
.long 0x7E380304
.long 0x7E3A0305
.long 0x7E3C0306
.long 0x7E3E0307
.long 0x924AB424
.long 0x80104A10
.long 0x82118011
.long 0xE07C1000, 0x80041C09
.long 0xBF8C0F77
.long 0xD0CC0034, 0x00010042
.long 0xD1000018, 0x00D230F2
.long 0xD1000019, 0x00D232F2
.long 0xD3B14024, 0x18024918
.long 0xD0CC0034, 0x00010042
.long 0xD100001A, 0x00D234F2
.long 0xD100001B, 0x00D236F2
.long 0xD3B14026, 0x18024D1A
.long 0xD13B0024, 0x00005B20
.long 0xD13B0025, 0x00005B21
.long 0xD13B0026, 0x00005B22
.long 0xD13B0027, 0x00005B23
.long 0xD3B24004, 0x18024914
.long 0xD3B24006, 0x18024D16
.long 0xBEC81E3E
.long 0x7E480304
.long 0x7E4A0305
.long 0x7E4C0306
.long 0x7E4E0307
.long 0x8E4A8224
.long 0x80104A10
.long 0x82118011
.long 0xE07C1000, 0x80042409
.long 0xBF8C0F77
	;; [unrolled: 24-line block ×8, first 2 shown]
.long 0xBF82145F
.long 0x7EEE02FF, 0x80000000
.long 0xD0C9004A, 0x00003100
	;; [unrolled: 1-line block ×3, first 2 shown]
.long 0x86CE4E4A
.long 0xD1FE0009, 0x020A0102
.long 0xD1000009, 0x013A1377
	;; [unrolled: 1-line block ×5, first 2 shown]
.long 0x24141482
.long 0xD100000A, 0x013A1577
.long 0xBF8CC07F
.long 0xBF8A0000
.long 0xD9FE0000, 0x1000000A
.long 0x24160082
.long 0xE05C1000, 0x8010140B
.long 0xD1FE0009, 0x020A0103
	;; [unrolled: 1-line block ×8, first 2 shown]
.long 0x86CE4E4A
.long 0xD1FE001C, 0x020A0102
.long 0xD100001C, 0x013A3977
	;; [unrolled: 1-line block ×5, first 2 shown]
.long 0x243A3A82
.long 0xD100001D, 0x013A3B77
.long 0x243C0082
.long 0xD1FE001C, 0x020A0103
.long 0xD100001C, 0x013A3977
	;; [unrolled: 1-line block ×7, first 2 shown]
.long 0x86CE4E4A
.long 0xD1FE001F, 0x020A0102
.long 0xD100001F, 0x013A3F77
	;; [unrolled: 1-line block ×5, first 2 shown]
.long 0x24505082
.long 0xD1000028, 0x013A5177
.long 0x24520082
.long 0xD1FE001F, 0x020A0103
.long 0xD100001F, 0x013A3F77
	;; [unrolled: 1-line block ×7, first 2 shown]
.long 0x86CE4E4A
.long 0xD1FE002A, 0x020A0102
.long 0xD100002A, 0x013A5577
	;; [unrolled: 1-line block ×5, first 2 shown]
.long 0x24565682
.long 0xD100002B, 0x013A5777
.long 0x24680082
.long 0xD1FE002A, 0x020A0103
.long 0xD100002A, 0x013A5577
	;; [unrolled: 1-line block ×3, first 2 shown]
.long 0x924A8D26
.long 0xD1340002, 0x00009502
.long 0x924A8D24
.long 0xD1340003, 0x00009503
.long 0xD0C9004A, 0x00003100
.long 0xD0C9004E, 0x00003301
.long 0x86CE4E4A
.long 0xD1FE0035, 0x020A0102
.long 0xD1000035, 0x013A6B77
.long 0xE05C1000, 0x80054035
.long 0x924A02FF, 0x00000100
.long 0xD1350036, 0x00009500
.long 0x246C6C82
.long 0xD1000036, 0x013A6D77
.long 0x246E0082
.long 0xD1FE0035, 0x020A0103
.long 0xD1000035, 0x013A6B77
.long 0xD1196A01, 0x00010301
.long 0xD1340002, 0x00004D02
.long 0xD1340003, 0x00004903
.long 0xD0C9004A, 0x00003100
.long 0xD0C9004E, 0x00003301
.long 0x86CE4E4A
.long 0xD1FE0048, 0x020A0102
.long 0xD1000048, 0x013A9177
.long 0xE05C1000, 0x80054C48
.long 0x924A02FF, 0x00000100
.long 0xD1350049, 0x00009500
.long 0x24929282
.long 0xD1000049, 0x013A9377
.long 0x24940082
.long 0xD1FE0048, 0x020A0103
.long 0xD1000048, 0x013A9177
.long 0xD1196A01, 0x00010301
.long 0xD1340002, 0x00004D02
	;; [unrolled: 16-line block ×3, first 2 shown]
.long 0xD1340003, 0x00004903
.long 0xD0C9004A, 0x00003100
	;; [unrolled: 1-line block ×3, first 2 shown]
.long 0x86CE4E4A
.long 0xD1FE0056, 0x020A0102
.long 0xD1000056, 0x013AAD77
	;; [unrolled: 1-line block ×5, first 2 shown]
.long 0x24AEAE82
.long 0xD1000057, 0x013AAF77
.long 0x24C00082
.long 0xD1FE0056, 0x020A0103
.long 0xD1000056, 0x013AAD77
	;; [unrolled: 1-line block ×3, first 2 shown]
.long 0x924A8D26
.long 0xD1340002, 0x00009502
.long 0x924A8D24
.long 0xD1340003, 0x00009503
.long 0xD0C9004A, 0x00003100
.long 0xD0C9004E, 0x00003301
.long 0x86CE4E4A
.long 0xD1FE0061, 0x020A0102
.long 0xD1000061, 0x013AC377
	;; [unrolled: 1-line block ×5, first 2 shown]
.long 0x24C4C482
.long 0xD1000062, 0x013AC577
.long 0x24C60082
.long 0xD1FE0061, 0x020A0103
.long 0xD1000061, 0x013AC377
	;; [unrolled: 1-line block ×7, first 2 shown]
.long 0x86CE4E4A
.long 0xD1FE0074, 0x020A0102
.long 0xD1000074, 0x013AE977
	;; [unrolled: 1-line block ×5, first 2 shown]
.long 0x24EAEA82
.long 0xD1000075, 0x013AEB77
.long 0x24EC0082
.long 0xD1FE0074, 0x020A0103
.long 0xD1000074, 0x013AE977
	;; [unrolled: 1-line block ×42, first 2 shown]
.long 0xBF800001
.long 0x0A30302C
	;; [unrolled: 1-line block ×42, first 2 shown]
.long 0xD0CC0034, 0x00010042
.long 0xD1000014, 0x00D228F2
.long 0xD1000015, 0x00D22AF2
.long 0xD3B14018, 0x18023114
.long 0xD0CC0034, 0x00010042
.long 0xD1000016, 0x00D22CF2
.long 0xD1000017, 0x00D22EF2
.long 0xD3B1401A, 0x18023516
.long 0xD13B0018, 0x00005B0C
.long 0xD13B0019, 0x00005B0D
.long 0xD13B001A, 0x00005B0E
.long 0xD13B001B, 0x00005B0F
.long 0xD3B24004, 0x18023110
.long 0xD3B24006, 0x18023512
.long 0xBEC81E3E
.long 0x7E300304
.long 0x7E320305
.long 0x7E340306
.long 0x7E360307
.long 0xE07C1000, 0x80041809
.long 0xD0CC0034, 0x00010042
.long 0xD1000014, 0x00D228F2
.long 0xD1000015, 0x00D22AF2
.long 0xD3B14024, 0x18024914
.long 0xD0CC0034, 0x00010042
.long 0xD1000016, 0x00D22CF2
.long 0xD1000017, 0x00D22EF2
.long 0xD3B14026, 0x18024D16
.long 0xD13B0024, 0x00005B20
.long 0xD13B0025, 0x00005B21
.long 0xD13B0026, 0x00005B22
.long 0xD13B0027, 0x00005B23
.long 0xD3B24004, 0x18024910
.long 0xD3B24006, 0x18024D12
.long 0xBEC81E3E
.long 0x7E480304
.long 0x7E4A0305
.long 0x7E4C0306
.long 0x7E4E0307
.long 0xE07C1000, 0x8004241C
	;; [unrolled: 20-line block ×10, first 2 shown]
.long 0xBF800000
.long 0x7EEE02FF, 0x80000000
.long 0xD1196A01, 0x00010301
	;; [unrolled: 1-line block ×6, first 2 shown]
.long 0x86CE4E4A
.long 0xD1FE0009, 0x020A0102
.long 0xD1000009, 0x013A1377
	;; [unrolled: 1-line block ×5, first 2 shown]
.long 0x24141482
.long 0xD100000A, 0x013A1577
.long 0xD9FE0000, 0x1000000A
.long 0x24160082
.long 0xE05C1000, 0x8010140B
.long 0xD1FE0009, 0x020A0103
	;; [unrolled: 1-line block ×8, first 2 shown]
.long 0x86CE4E4A
.long 0xD1FE001C, 0x020A0102
.long 0xD100001C, 0x013A3977
	;; [unrolled: 1-line block ×5, first 2 shown]
.long 0x243A3A82
.long 0xD100001D, 0x013A3B77
.long 0x243C0082
.long 0xD1FE001C, 0x020A0103
.long 0xD100001C, 0x013A3977
	;; [unrolled: 1-line block ×3, first 2 shown]
.long 0x924A8D26
.long 0xD1340002, 0x00009502
.long 0x924A8D24
.long 0xD1340003, 0x00009503
.long 0xD0C9004A, 0x00003100
.long 0xD0C9004E, 0x00003301
.long 0x86CE4E4A
.long 0xD1FE001F, 0x020A0102
.long 0xD100001F, 0x013A3F77
.long 0xE05C1000, 0x80052C1F
.long 0x924A02FF, 0x00000100
.long 0xD1350028, 0x00009500
.long 0x24505082
.long 0xD1000028, 0x013A5177
.long 0x24520082
.long 0xD1FE001F, 0x020A0103
.long 0xD100001F, 0x013A3F77
.long 0xD1196A01, 0x00010301
.long 0xD1340002, 0x00004D02
.long 0xD1340003, 0x00004903
.long 0xD0C9004A, 0x00003100
.long 0xD0C9004E, 0x00003301
.long 0x86CE4E4A
.long 0xD1FE002A, 0x020A0102
.long 0xD100002A, 0x013A5577
.long 0xE05C1000, 0x8005382A
.long 0x924A02FF, 0x00000100
.long 0xD135002B, 0x00009500
.long 0x24565682
.long 0xD100002B, 0x013A5777
.long 0x24680082
.long 0xD1FE002A, 0x020A0103
.long 0xD100002A, 0x013A5577
.long 0xD1196A01, 0x00010301
.long 0xD1340002, 0x00004D02
	;; [unrolled: 16-line block ×3, first 2 shown]
.long 0xD1340003, 0x00004903
.long 0xD0C9004A, 0x00003100
	;; [unrolled: 1-line block ×3, first 2 shown]
.long 0x86CE4E4A
.long 0xD1FE0048, 0x020A0102
.long 0xD1000048, 0x013A9177
	;; [unrolled: 1-line block ×5, first 2 shown]
.long 0x24929282
.long 0xD1000049, 0x013A9377
.long 0x24940082
.long 0xD1FE0048, 0x020A0103
.long 0xD1000048, 0x013A9177
	;; [unrolled: 1-line block ×3, first 2 shown]
.long 0x924A8D26
.long 0xD1340002, 0x00009502
.long 0x924A8D24
.long 0xD1340003, 0x00009503
.long 0xD0C9004A, 0x00003100
.long 0xD0C9004E, 0x00003301
.long 0x86CE4E4A
.long 0xD1FE004B, 0x020A0102
.long 0xD100004B, 0x013A9777
.long 0xE05C1000, 0x8005584B
.long 0x924A02FF, 0x00000100
.long 0xD1350054, 0x00009500
.long 0x24A8A882
.long 0xD1000054, 0x013AA977
.long 0x24AA0082
.long 0xD1FE004B, 0x020A0103
.long 0xD100004B, 0x013A9777
.long 0xD1196A01, 0x00010301
.long 0xD1340002, 0x00004D02
.long 0xD1340003, 0x00004903
.long 0xD0C9004A, 0x00003100
.long 0xD0C9004E, 0x00003301
.long 0x86CE4E4A
.long 0xD1FE0056, 0x020A0102
.long 0xD1000056, 0x013AAD77
.long 0xE05C1000, 0x80056456
.long 0x924A02FF, 0x00000100
.long 0xD1350057, 0x00009500
.long 0x24AEAE82
.long 0xD1000057, 0x013AAF77
.long 0x24C00082
.long 0xD1FE0056, 0x020A0103
.long 0xD1000056, 0x013AAD77
.long 0xD1196A01, 0x00010301
.long 0xD1340002, 0x00004D02
	;; [unrolled: 16-line block ×4, first 2 shown]
.long 0xD3D8401A, 0x1800012A
.long 0xD3D8401B, 0x1800012E
	;; [unrolled: 1-line block ×38, first 2 shown]
.long 0xBF800001
.long 0x0A30302C
	;; [unrolled: 1-line block ×42, first 2 shown]
.long 0xD0CC0034, 0x00010042
.long 0xD1000014, 0x00D228F2
.long 0xD1000015, 0x00D22AF2
.long 0xD3B14018, 0x18023114
.long 0xD0CC0034, 0x00010042
.long 0xD1000016, 0x00D22CF2
.long 0xD1000017, 0x00D22EF2
.long 0xD3B1401A, 0x18023516
.long 0xD13B0018, 0x00005B0C
.long 0xD13B0019, 0x00005B0D
.long 0xD13B001A, 0x00005B0E
.long 0xD13B001B, 0x00005B0F
.long 0xD3B24004, 0x18023110
.long 0xD3B24006, 0x18023512
.long 0xBEC81E3E
.long 0x7E300304
.long 0x7E320305
.long 0x7E340306
.long 0x7E360307
.long 0xE07C1000, 0x80041809
.long 0xD0CC0034, 0x00010042
.long 0xD1000014, 0x00D228F2
.long 0xD1000015, 0x00D22AF2
.long 0xD3B14024, 0x18024914
.long 0xD0CC0034, 0x00010042
.long 0xD1000016, 0x00D22CF2
.long 0xD1000017, 0x00D22EF2
.long 0xD3B14026, 0x18024D16
.long 0xD13B0024, 0x00005B20
.long 0xD13B0025, 0x00005B21
.long 0xD13B0026, 0x00005B22
.long 0xD13B0027, 0x00005B23
.long 0xD3B24004, 0x18024910
.long 0xD3B24006, 0x18024D12
.long 0xBEC81E3E
.long 0x7E480304
.long 0x7E4A0305
.long 0x7E4C0306
.long 0x7E4E0307
.long 0xE07C1000, 0x8004241C
	;; [unrolled: 20-line block ×10, first 2 shown]
.long 0xBF800000
.long 0x7EEE02FF, 0x80000000
.long 0xD1196A01, 0x00011B01
.long 0x924A8D26
.long 0xD1340002, 0x00009502
.long 0x924A8D24
.long 0xD1340003, 0x00009503
.long 0xD0C9004A, 0x00003100
	;; [unrolled: 1-line block ×3, first 2 shown]
.long 0x86CE4E4A
.long 0xD1FE0009, 0x020A0102
.long 0xD1000009, 0x013A1377
.long 0xE05C1000, 0x80050C09
.long 0x924A02FF, 0x00000100
.long 0xD135000A, 0x00009500
.long 0x24141482
.long 0xD100000A, 0x013A1577
.long 0xD9FE0000, 0x1000000A
.long 0x24160082
.long 0xE05C1000, 0x8010140B
.long 0xD1FE0009, 0x020A0103
	;; [unrolled: 1-line block ×8, first 2 shown]
.long 0x86CE4E4A
.long 0xD1FE001C, 0x020A0102
.long 0xD100001C, 0x013A3977
	;; [unrolled: 1-line block ×5, first 2 shown]
.long 0x243A3A82
.long 0xD100001D, 0x013A3B77
.long 0x243C0082
.long 0xD1FE001C, 0x020A0103
.long 0xD100001C, 0x013A3977
.long 0xD1196A01, 0x00010301
.long 0xD1340002, 0x00004D02
.long 0xD1340003, 0x00004903
.long 0xD0C9004A, 0x00003100
.long 0xD0C9004E, 0x00003301
.long 0x86CE4E4A
.long 0xD1FE001F, 0x020A0102
.long 0xD100001F, 0x013A3F77
	;; [unrolled: 1-line block ×5, first 2 shown]
.long 0x24505082
.long 0xD1000028, 0x013A5177
.long 0x24520082
.long 0xD1FE001F, 0x020A0103
.long 0xD100001F, 0x013A3F77
	;; [unrolled: 1-line block ×7, first 2 shown]
.long 0x86CE4E4A
.long 0xD1FE002A, 0x020A0102
.long 0xD100002A, 0x013A5577
	;; [unrolled: 1-line block ×5, first 2 shown]
.long 0x24565682
.long 0xD100002B, 0x013A5777
.long 0x24680082
.long 0xD1FE002A, 0x020A0103
.long 0xD100002A, 0x013A5577
	;; [unrolled: 1-line block ×3, first 2 shown]
.long 0x924A8D26
.long 0xD1340002, 0x00009502
.long 0x924A8D24
.long 0xD1340003, 0x00009503
.long 0xD0C9004A, 0x00003100
.long 0xD0C9004E, 0x00003301
.long 0x86CE4E4A
.long 0xD1FE0035, 0x020A0102
.long 0xD1000035, 0x013A6B77
.long 0xE05C1000, 0x80054035
.long 0x924A02FF, 0x00000100
.long 0xD1350036, 0x00009500
.long 0x246C6C82
.long 0xD1000036, 0x013A6D77
.long 0x246E0082
.long 0xD1FE0035, 0x020A0103
.long 0xD1000035, 0x013A6B77
.long 0xD1196A01, 0x00010301
.long 0xD1340002, 0x00004D02
.long 0xD1340003, 0x00004903
.long 0xD0C9004A, 0x00003100
.long 0xD0C9004E, 0x00003301
.long 0x86CE4E4A
.long 0xD1FE0048, 0x020A0102
.long 0xD1000048, 0x013A9177
.long 0xE05C1000, 0x80054C48
.long 0x924A02FF, 0x00000100
.long 0xD1350049, 0x00009500
.long 0x24929282
.long 0xD1000049, 0x013A9377
.long 0x24940082
.long 0xD1FE0048, 0x020A0103
.long 0xD1000048, 0x013A9177
.long 0xD1196A01, 0x00010301
.long 0xD1340002, 0x00004D02
	;; [unrolled: 16-line block ×3, first 2 shown]
.long 0xD1340003, 0x00004903
.long 0xD0C9004A, 0x00003100
	;; [unrolled: 1-line block ×3, first 2 shown]
.long 0x86CE4E4A
.long 0xD1FE0056, 0x020A0102
.long 0xD1000056, 0x013AAD77
	;; [unrolled: 1-line block ×5, first 2 shown]
.long 0x24AEAE82
.long 0xD1000057, 0x013AAF77
.long 0x24C00082
.long 0xD1FE0056, 0x020A0103
.long 0xD1000056, 0x013AAD77
	;; [unrolled: 1-line block ×3, first 2 shown]
.long 0x924A8D26
.long 0xD1340002, 0x00009502
.long 0x924A8D24
.long 0xD1340003, 0x00009503
.long 0xD0C9004A, 0x00003100
	;; [unrolled: 1-line block ×3, first 2 shown]
.long 0x86CE4E4A
.long 0xD1FE0061, 0x020A0102
.long 0xD1000061, 0x013AC377
	;; [unrolled: 1-line block ×5, first 2 shown]
.long 0x24C4C482
.long 0xD1000062, 0x013AC577
.long 0x24C60082
.long 0xD1FE0061, 0x020A0103
.long 0xD1000061, 0x013AC377
	;; [unrolled: 1-line block ×7, first 2 shown]
.long 0x86CE4E4A
.long 0xD1FE0074, 0x020A0102
.long 0xD1000074, 0x013AE977
	;; [unrolled: 1-line block ×5, first 2 shown]
.long 0x24EAEA82
.long 0xD1000075, 0x013AEB77
.long 0x24EC0082
.long 0xD1FE0074, 0x020A0103
.long 0xD1000074, 0x013AE977
	;; [unrolled: 1-line block ×42, first 2 shown]
.long 0xBF800001
.long 0x0A30302C
	;; [unrolled: 1-line block ×42, first 2 shown]
.long 0xD0CC0034, 0x00010042
.long 0xD1000014, 0x00D228F2
.long 0xD1000015, 0x00D22AF2
.long 0xD3B14018, 0x18023114
.long 0xD0CC0034, 0x00010042
.long 0xD1000016, 0x00D22CF2
.long 0xD1000017, 0x00D22EF2
.long 0xD3B1401A, 0x18023516
.long 0xD13B0018, 0x00005B0C
.long 0xD13B0019, 0x00005B0D
.long 0xD13B001A, 0x00005B0E
.long 0xD13B001B, 0x00005B0F
.long 0xD3B24004, 0x18023110
.long 0xD3B24006, 0x18023512
.long 0xBEC81E3E
.long 0x7E300304
.long 0x7E320305
.long 0x7E340306
.long 0x7E360307
.long 0xE07C1000, 0x80041809
.long 0xD0CC0034, 0x00010042
.long 0xD1000014, 0x00D228F2
.long 0xD1000015, 0x00D22AF2
.long 0xD3B14024, 0x18024914
.long 0xD0CC0034, 0x00010042
.long 0xD1000016, 0x00D22CF2
.long 0xD1000017, 0x00D22EF2
.long 0xD3B14026, 0x18024D16
.long 0xD13B0024, 0x00005B20
.long 0xD13B0025, 0x00005B21
.long 0xD13B0026, 0x00005B22
.long 0xD13B0027, 0x00005B23
.long 0xD3B24004, 0x18024910
.long 0xD3B24006, 0x18024D12
.long 0xBEC81E3E
.long 0x7E480304
.long 0x7E4A0305
.long 0x7E4C0306
.long 0x7E4E0307
.long 0xE07C1000, 0x8004241C
	;; [unrolled: 20-line block ×10, first 2 shown]
.long 0xBF800000
.long 0x7EEE02FF, 0x80000000
.long 0xD1196A01, 0x00010301
	;; [unrolled: 1-line block ×6, first 2 shown]
.long 0x86CE4E4A
.long 0xD1FE0009, 0x020A0102
.long 0xD1000009, 0x013A1377
	;; [unrolled: 1-line block ×5, first 2 shown]
.long 0x24141482
.long 0xD100000A, 0x013A1577
.long 0xD9FE0000, 0x1000000A
.long 0x24160082
.long 0xE05C1000, 0x8010140B
.long 0xD1FE0009, 0x020A0103
	;; [unrolled: 1-line block ×8, first 2 shown]
.long 0x86CE4E4A
.long 0xD1FE001C, 0x020A0102
.long 0xD100001C, 0x013A3977
	;; [unrolled: 1-line block ×5, first 2 shown]
.long 0x243A3A82
.long 0xD100001D, 0x013A3B77
.long 0x243C0082
.long 0xD1FE001C, 0x020A0103
.long 0xD100001C, 0x013A3977
	;; [unrolled: 1-line block ×3, first 2 shown]
.long 0x924A8D26
.long 0xD1340002, 0x00009502
.long 0x924A8D24
.long 0xD1340003, 0x00009503
.long 0xD0C9004A, 0x00003100
.long 0xD0C9004E, 0x00003301
.long 0x86CE4E4A
.long 0xD1FE001F, 0x020A0102
.long 0xD100001F, 0x013A3F77
.long 0xE05C1000, 0x80052C1F
.long 0x924A02FF, 0x00000100
.long 0xD1350028, 0x00009500
.long 0x24505082
.long 0xD1000028, 0x013A5177
.long 0x24520082
.long 0xD1FE001F, 0x020A0103
.long 0xD100001F, 0x013A3F77
.long 0xD1196A01, 0x00010301
.long 0xD1340002, 0x00004D02
.long 0xD1340003, 0x00004903
.long 0xD0C9004A, 0x00003100
.long 0xD0C9004E, 0x00003301
.long 0x86CE4E4A
.long 0xD1FE002A, 0x020A0102
.long 0xD100002A, 0x013A5577
.long 0xE05C1000, 0x8005382A
.long 0x924A02FF, 0x00000100
.long 0xD135002B, 0x00009500
.long 0x24565682
.long 0xD100002B, 0x013A5777
.long 0x24680082
.long 0xD1FE002A, 0x020A0103
.long 0xD100002A, 0x013A5577
.long 0xD1196A01, 0x00010301
.long 0xD1340002, 0x00004D02
	;; [unrolled: 16-line block ×3, first 2 shown]
.long 0xD1340003, 0x00004903
.long 0xD0C9004A, 0x00003100
	;; [unrolled: 1-line block ×3, first 2 shown]
.long 0x86CE4E4A
.long 0xD1FE0048, 0x020A0102
.long 0xD1000048, 0x013A9177
.long 0xE05C1000, 0x80054C48
.long 0x924A02FF, 0x00000100
.long 0xD1350049, 0x00009500
.long 0x24929282
.long 0xD1000049, 0x013A9377
.long 0x24940082
.long 0xD1FE0048, 0x020A0103
.long 0xD1000048, 0x013A9177
	;; [unrolled: 1-line block ×3, first 2 shown]
.long 0x924A8D26
.long 0xD1340002, 0x00009502
.long 0x924A8D24
.long 0xD1340003, 0x00009503
.long 0xD0C9004A, 0x00003100
.long 0xD0C9004E, 0x00003301
.long 0x86CE4E4A
.long 0xD1FE004B, 0x020A0102
.long 0xD100004B, 0x013A9777
.long 0xE05C1000, 0x8005584B
.long 0x924A02FF, 0x00000100
.long 0xD1350054, 0x00009500
.long 0x24A8A882
.long 0xD1000054, 0x013AA977
.long 0x24AA0082
.long 0xD1FE004B, 0x020A0103
.long 0xD100004B, 0x013A9777
.long 0xD1196A01, 0x00010301
.long 0xD1340002, 0x00004D02
.long 0xD1340003, 0x00004903
.long 0xD0C9004A, 0x00003100
.long 0xD0C9004E, 0x00003301
.long 0x86CE4E4A
.long 0xD1FE0056, 0x020A0102
.long 0xD1000056, 0x013AAD77
.long 0xE05C1000, 0x80056456
.long 0x924A02FF, 0x00000100
.long 0xD1350057, 0x00009500
.long 0x24AEAE82
.long 0xD1000057, 0x013AAF77
.long 0x24C00082
.long 0xD1FE0056, 0x020A0103
.long 0xD1000056, 0x013AAD77
.long 0xD1196A01, 0x00010301
.long 0xD1340002, 0x00004D02
	;; [unrolled: 16-line block ×4, first 2 shown]
.long 0xD3D8401A, 0x1800017A
.long 0xD3D8401B, 0x1800017E
	;; [unrolled: 1-line block ×38, first 2 shown]
.long 0xBF800001
.long 0x0A30302C
	;; [unrolled: 1-line block ×42, first 2 shown]
.long 0xD0CC0034, 0x00010042
.long 0xD1000014, 0x00D228F2
.long 0xD1000015, 0x00D22AF2
.long 0xD3B14018, 0x18023114
.long 0xD0CC0034, 0x00010042
.long 0xD1000016, 0x00D22CF2
.long 0xD1000017, 0x00D22EF2
.long 0xD3B1401A, 0x18023516
.long 0xD13B0018, 0x00005B0C
.long 0xD13B0019, 0x00005B0D
.long 0xD13B001A, 0x00005B0E
.long 0xD13B001B, 0x00005B0F
.long 0xD3B24004, 0x18023110
.long 0xD3B24006, 0x18023512
.long 0xBEC81E3E
.long 0x7E300304
.long 0x7E320305
.long 0x7E340306
.long 0x7E360307
.long 0xE07C1000, 0x80041809
.long 0xD0CC0034, 0x00010042
.long 0xD1000014, 0x00D228F2
.long 0xD1000015, 0x00D22AF2
.long 0xD3B14024, 0x18024914
.long 0xD0CC0034, 0x00010042
.long 0xD1000016, 0x00D22CF2
.long 0xD1000017, 0x00D22EF2
.long 0xD3B14026, 0x18024D16
.long 0xD13B0024, 0x00005B20
.long 0xD13B0025, 0x00005B21
.long 0xD13B0026, 0x00005B22
.long 0xD13B0027, 0x00005B23
.long 0xD3B24004, 0x18024910
.long 0xD3B24006, 0x18024D12
.long 0xBEC81E3E
.long 0x7E480304
.long 0x7E4A0305
.long 0x7E4C0306
.long 0x7E4E0307
.long 0xE07C1000, 0x8004241C
.long 0xD0CC0034, 0x00010042
.long 0xD1000014, 0x00D228F2
.long 0xD1000015, 0x00D22AF2
.long 0xD3B14030, 0x18026114
.long 0xD0CC0034, 0x00010042
.long 0xD1000016, 0x00D22CF2
.long 0xD1000017, 0x00D22EF2
.long 0xD3B14032, 0x18026516
.long 0xD13B0030, 0x00005B2C
.long 0xD13B0031, 0x00005B2D
.long 0xD13B0032, 0x00005B2E
.long 0xD13B0033, 0x00005B2F
.long 0xD3B24004, 0x18026110
.long 0xD3B24006, 0x18026512
.long 0xBEC81E3E
.long 0x7E600304
.long 0x7E620305
.long 0x7E640306
.long 0x7E660307
.long 0xE07C1000, 0x8004301F
.long 0xD0CC0034, 0x00010042
.long 0xD1000014, 0x00D228F2
.long 0xD1000015, 0x00D22AF2
.long 0xD3B1403C, 0x18027914
.long 0xD0CC0034, 0x00010042
.long 0xD1000016, 0x00D22CF2
.long 0xD1000017, 0x00D22EF2
.long 0xD3B1403E, 0x18027D16
.long 0xD13B003C, 0x00005B38
.long 0xD13B003D, 0x00005B39
.long 0xD13B003E, 0x00005B3A
.long 0xD13B003F, 0x00005B3B
.long 0xD3B24004, 0x18027910
.long 0xD3B24006, 0x18027D12
.long 0xBEC81E3E
.long 0x7E780304
.long 0x7E7A0305
.long 0x7E7C0306
.long 0x7E7E0307
.long 0xE07C1000, 0x80043C2A
.long 0xD0CC0034, 0x00010042
.long 0xD1000014, 0x00D228F2
.long 0xD1000015, 0x00D22AF2
.long 0xD3B14044, 0x18028914
.long 0xD0CC0034, 0x00010042
.long 0xD1000016, 0x00D22CF2
.long 0xD1000017, 0x00D22EF2
.long 0xD3B14046, 0x18028D16
.long 0xD13B0044, 0x00005B40
.long 0xD13B0045, 0x00005B41
.long 0xD13B0046, 0x00005B42
.long 0xD13B0047, 0x00005B43
.long 0xD3B24004, 0x18028910
.long 0xD3B24006, 0x18028D12
.long 0xBEC81E3E
.long 0x7E880304
.long 0x7E8A0305
.long 0x7E8C0306
.long 0x7E8E0307
.long 0xE07C1000, 0x80044435
.long 0xD0CC0034, 0x00010042
.long 0xD1000014, 0x00D228F2
.long 0xD1000015, 0x00D22AF2
.long 0xD3B14050, 0x1802A114
.long 0xD0CC0034, 0x00010042
.long 0xD1000016, 0x00D22CF2
.long 0xD1000017, 0x00D22EF2
.long 0xD3B14052, 0x1802A516
.long 0xD13B0050, 0x00005B4C
.long 0xD13B0051, 0x00005B4D
.long 0xD13B0052, 0x00005B4E
.long 0xD13B0053, 0x00005B4F
.long 0xD3B24004, 0x1802A110
.long 0xD3B24006, 0x1802A512
.long 0xBEC81E3E
.long 0x7EA00304
.long 0x7EA20305
.long 0x7EA40306
.long 0x7EA60307
.long 0xE07C1000, 0x80045048
.long 0xD0CC0034, 0x00010042
.long 0xD1000014, 0x00D228F2
.long 0xD1000015, 0x00D22AF2
.long 0xD3B1405C, 0x1802B914
.long 0xD0CC0034, 0x00010042
.long 0xD1000016, 0x00D22CF2
.long 0xD1000017, 0x00D22EF2
.long 0xD3B1405E, 0x1802BD16
.long 0xD13B005C, 0x00005B58
.long 0xD13B005D, 0x00005B59
.long 0xD13B005E, 0x00005B5A
.long 0xD13B005F, 0x00005B5B
.long 0xD3B24004, 0x1802B910
.long 0xD3B24006, 0x1802BD12
.long 0xBEC81E3E
.long 0x7EB80304
.long 0x7EBA0305
.long 0x7EBC0306
.long 0x7EBE0307
.long 0xE07C1000, 0x80045C4B
.long 0xD0CC0034, 0x00010042
.long 0xD1000014, 0x00D228F2
.long 0xD1000015, 0x00D22AF2
.long 0xD3B14068, 0x1802D114
.long 0xD0CC0034, 0x00010042
.long 0xD1000016, 0x00D22CF2
.long 0xD1000017, 0x00D22EF2
.long 0xD3B1406A, 0x1802D516
.long 0xD13B0068, 0x00005B64
.long 0xD13B0069, 0x00005B65
.long 0xD13B006A, 0x00005B66
.long 0xD13B006B, 0x00005B67
.long 0xD3B24004, 0x1802D110
.long 0xD3B24006, 0x1802D512
.long 0xBEC81E3E
.long 0x7ED00304
.long 0x7ED20305
.long 0x7ED40306
.long 0x7ED60307
.long 0xE07C1000, 0x80046856
.long 0xD0CC0034, 0x00010042
.long 0xD1000014, 0x00D228F2
.long 0xD1000015, 0x00D22AF2
.long 0xD3B14070, 0x1802E114
.long 0xD0CC0034, 0x00010042
.long 0xD1000016, 0x00D22CF2
.long 0xD1000017, 0x00D22EF2
.long 0xD3B14072, 0x1802E516
.long 0xD13B0070, 0x00005B6C
.long 0xD13B0071, 0x00005B6D
.long 0xD13B0072, 0x00005B6E
.long 0xD13B0073, 0x00005B6F
.long 0xD3B24004, 0x1802E110
.long 0xD3B24006, 0x1802E512
.long 0xBEC81E3E
.long 0x7EE00304
.long 0x7EE20305
.long 0x7EE40306
.long 0x7EE60307
.long 0xE07C1000, 0x80047061
.long 0xD0CC0034, 0x00010042
.long 0xD1000014, 0x00D228F2
.long 0xD1000015, 0x00D22AF2
.long 0xD3B1407C, 0x1802F914
.long 0xD0CC0034, 0x00010042
.long 0xD1000016, 0x00D22CF2
.long 0xD1000017, 0x00D22EF2
.long 0xD3B1407E, 0x1802FD16
.long 0xD13B007C, 0x00005B78
.long 0xD13B007D, 0x00005B79
.long 0xD13B007E, 0x00005B7A
.long 0xD13B007F, 0x00005B7B
.long 0xD3B24004, 0x1802F910
.long 0xD3B24006, 0x1802FD12
.long 0xBEC81E3E
.long 0x7EF80304
.long 0x7EFA0305
.long 0x7EFC0306
.long 0x7EFE0307
.long 0xE07C1000, 0x80047C74
.long 0xBF800000
.long 0x7EEE02FF, 0x80000000
.long 0xD1196A01, 0x00011B01
.long 0x924A8D26
.long 0xD1340002, 0x00009502
.long 0x924A8D24
.long 0xD1340003, 0x00009503
.long 0xD0C9004A, 0x00003100
	;; [unrolled: 1-line block ×3, first 2 shown]
.long 0x86CE4E4A
.long 0xD1FE0009, 0x020A0102
.long 0xD1000009, 0x013A1377
	;; [unrolled: 1-line block ×5, first 2 shown]
.long 0x24141482
.long 0xD100000A, 0x013A1577
.long 0xD9FE0000, 0x1000000A
.long 0x24160082
.long 0xE05C1000, 0x8010140B
.long 0xD1FE0009, 0x020A0103
	;; [unrolled: 1-line block ×8, first 2 shown]
.long 0x86CE4E4A
.long 0xD1FE001C, 0x020A0102
.long 0xD100001C, 0x013A3977
	;; [unrolled: 1-line block ×5, first 2 shown]
.long 0x243A3A82
.long 0xD100001D, 0x013A3B77
.long 0x243C0082
.long 0xD1FE001C, 0x020A0103
.long 0xD100001C, 0x013A3977
	;; [unrolled: 1-line block ×7, first 2 shown]
.long 0x86CE4E4A
.long 0xD1FE001F, 0x020A0102
.long 0xD100001F, 0x013A3F77
	;; [unrolled: 1-line block ×5, first 2 shown]
.long 0x24505082
.long 0xD1000028, 0x013A5177
.long 0x24520082
.long 0xD1FE001F, 0x020A0103
.long 0xD100001F, 0x013A3F77
	;; [unrolled: 1-line block ×7, first 2 shown]
.long 0x86CE4E4A
.long 0xD1FE002A, 0x020A0102
.long 0xD100002A, 0x013A5577
	;; [unrolled: 1-line block ×5, first 2 shown]
.long 0x24565682
.long 0xD100002B, 0x013A5777
.long 0x24680082
.long 0xD1FE002A, 0x020A0103
.long 0xD100002A, 0x013A5577
	;; [unrolled: 1-line block ×3, first 2 shown]
.long 0x924A8D26
.long 0xD1340002, 0x00009502
.long 0x924A8D24
.long 0xD1340003, 0x00009503
.long 0xD0C9004A, 0x00003100
.long 0xD0C9004E, 0x00003301
.long 0x86CE4E4A
.long 0xD1FE0035, 0x020A0102
.long 0xD1000035, 0x013A6B77
.long 0xE05C1000, 0x80054035
.long 0x924A02FF, 0x00000100
.long 0xD1350036, 0x00009500
.long 0x246C6C82
.long 0xD1000036, 0x013A6D77
.long 0x246E0082
.long 0xD1FE0035, 0x020A0103
.long 0xD1000035, 0x013A6B77
.long 0xD1196A01, 0x00010301
.long 0xD1340002, 0x00004D02
.long 0xD1340003, 0x00004903
.long 0xD0C9004A, 0x00003100
.long 0xD0C9004E, 0x00003301
.long 0x86CE4E4A
.long 0xD1FE0048, 0x020A0102
.long 0xD1000048, 0x013A9177
.long 0xE05C1000, 0x80054C48
.long 0x924A02FF, 0x00000100
.long 0xD1350049, 0x00009500
.long 0x24929282
.long 0xD1000049, 0x013A9377
.long 0x24940082
.long 0xD1FE0048, 0x020A0103
.long 0xD1000048, 0x013A9177
.long 0xD1196A01, 0x00010301
.long 0xD1340002, 0x00004D02
	;; [unrolled: 16-line block ×3, first 2 shown]
.long 0xD1340003, 0x00004903
.long 0xD0C9004A, 0x00003100
	;; [unrolled: 1-line block ×3, first 2 shown]
.long 0x86CE4E4A
.long 0xD1FE0056, 0x020A0102
.long 0xD1000056, 0x013AAD77
	;; [unrolled: 1-line block ×5, first 2 shown]
.long 0x24AEAE82
.long 0xD1000057, 0x013AAF77
.long 0x24C00082
.long 0xD1FE0056, 0x020A0103
.long 0xD1000056, 0x013AAD77
	;; [unrolled: 1-line block ×3, first 2 shown]
.long 0x924A8D26
.long 0xD1340002, 0x00009502
.long 0x924A8D24
.long 0xD1340003, 0x00009503
.long 0xD0C9004A, 0x00003100
	;; [unrolled: 1-line block ×3, first 2 shown]
.long 0x86CE4E4A
.long 0xD1FE0061, 0x020A0102
.long 0xD1000061, 0x013AC377
	;; [unrolled: 1-line block ×5, first 2 shown]
.long 0x24C4C482
.long 0xD1000062, 0x013AC577
.long 0x24C60082
.long 0xD1FE0061, 0x020A0103
.long 0xD1000061, 0x013AC377
	;; [unrolled: 1-line block ×7, first 2 shown]
.long 0x86CE4E4A
.long 0xD1FE0074, 0x020A0102
.long 0xD1000074, 0x013AE977
	;; [unrolled: 1-line block ×5, first 2 shown]
.long 0x24EAEA82
.long 0xD1000075, 0x013AEB77
.long 0x24EC0082
.long 0xD1FE0074, 0x020A0103
.long 0xD1000074, 0x013AE977
	;; [unrolled: 1-line block ×42, first 2 shown]
.long 0xBF800001
.long 0x0A30302C
	;; [unrolled: 1-line block ×42, first 2 shown]
.long 0xD0CC0034, 0x00010042
.long 0xD1000014, 0x00D228F2
.long 0xD1000015, 0x00D22AF2
.long 0xD3B14018, 0x18023114
.long 0xD0CC0034, 0x00010042
.long 0xD1000016, 0x00D22CF2
.long 0xD1000017, 0x00D22EF2
.long 0xD3B1401A, 0x18023516
.long 0xD13B0018, 0x00005B0C
.long 0xD13B0019, 0x00005B0D
.long 0xD13B001A, 0x00005B0E
.long 0xD13B001B, 0x00005B0F
.long 0xD3B24004, 0x18023110
.long 0xD3B24006, 0x18023512
.long 0xBEC81E3E
.long 0x7E300304
.long 0x7E320305
.long 0x7E340306
.long 0x7E360307
.long 0xE07C1000, 0x80041809
.long 0xD0CC0034, 0x00010042
.long 0xD1000014, 0x00D228F2
.long 0xD1000015, 0x00D22AF2
.long 0xD3B14024, 0x18024914
.long 0xD0CC0034, 0x00010042
.long 0xD1000016, 0x00D22CF2
.long 0xD1000017, 0x00D22EF2
.long 0xD3B14026, 0x18024D16
.long 0xD13B0024, 0x00005B20
.long 0xD13B0025, 0x00005B21
.long 0xD13B0026, 0x00005B22
.long 0xD13B0027, 0x00005B23
.long 0xD3B24004, 0x18024910
.long 0xD3B24006, 0x18024D12
.long 0xBEC81E3E
.long 0x7E480304
.long 0x7E4A0305
.long 0x7E4C0306
.long 0x7E4E0307
.long 0xE07C1000, 0x8004241C
	;; [unrolled: 20-line block ×10, first 2 shown]
.long 0xBF800000
.long 0x7EEE02FF, 0x80000000
.long 0xD1196A01, 0x00010301
	;; [unrolled: 1-line block ×6, first 2 shown]
.long 0x86CE4E4A
.long 0xD1FE0009, 0x020A0102
.long 0xD1000009, 0x013A1377
	;; [unrolled: 1-line block ×5, first 2 shown]
.long 0x24141482
.long 0xD100000A, 0x013A1577
.long 0xD9FE0000, 0x1000000A
.long 0x24160082
.long 0xE05C1000, 0x8010140B
.long 0xD1FE0009, 0x020A0103
	;; [unrolled: 1-line block ×8, first 2 shown]
.long 0x86CE4E4A
.long 0xD1FE001C, 0x020A0102
.long 0xD100001C, 0x013A3977
	;; [unrolled: 1-line block ×5, first 2 shown]
.long 0x243A3A82
.long 0xD100001D, 0x013A3B77
.long 0x243C0082
.long 0xD1FE001C, 0x020A0103
.long 0xD100001C, 0x013A3977
.long 0xD1196A01, 0x00011B01
.long 0x924A8D26
.long 0xD1340002, 0x00009502
.long 0x924A8D24
.long 0xD1340003, 0x00009503
.long 0xD0C9004A, 0x00003100
.long 0xD0C9004E, 0x00003301
.long 0x86CE4E4A
.long 0xD1FE001F, 0x020A0102
.long 0xD100001F, 0x013A3F77
.long 0xE05C1000, 0x80052C1F
.long 0x924A02FF, 0x00000100
.long 0xD1350028, 0x00009500
.long 0x24505082
.long 0xD1000028, 0x013A5177
.long 0x24520082
.long 0xD1FE001F, 0x020A0103
.long 0xD100001F, 0x013A3F77
.long 0xD1196A01, 0x00010301
.long 0xD1340002, 0x00004D02
.long 0xD1340003, 0x00004903
.long 0xD0C9004A, 0x00003100
.long 0xD0C9004E, 0x00003301
.long 0x86CE4E4A
.long 0xD1FE002A, 0x020A0102
.long 0xD100002A, 0x013A5577
.long 0xE05C1000, 0x8005382A
.long 0x924A02FF, 0x00000100
.long 0xD135002B, 0x00009500
.long 0x24565682
.long 0xD100002B, 0x013A5777
.long 0x24680082
.long 0xD1FE002A, 0x020A0103
.long 0xD100002A, 0x013A5577
.long 0xD1196A01, 0x00010301
.long 0xD1340002, 0x00004D02
	;; [unrolled: 16-line block ×3, first 2 shown]
.long 0xD1340003, 0x00004903
.long 0xD0C9004A, 0x00003100
	;; [unrolled: 1-line block ×3, first 2 shown]
.long 0x86CE4E4A
.long 0xD1FE0048, 0x020A0102
.long 0xD1000048, 0x013A9177
	;; [unrolled: 1-line block ×5, first 2 shown]
.long 0x24929282
.long 0xD1000049, 0x013A9377
.long 0x24940082
.long 0xD1FE0048, 0x020A0103
.long 0xD1000048, 0x013A9177
	;; [unrolled: 1-line block ×3, first 2 shown]
.long 0x924A8D26
.long 0xD1340002, 0x00009502
.long 0x924A8D24
.long 0xD1340003, 0x00009503
.long 0xD0C9004A, 0x00003100
.long 0xD0C9004E, 0x00003301
.long 0x86CE4E4A
.long 0xD1FE004B, 0x020A0102
.long 0xD100004B, 0x013A9777
.long 0xE05C1000, 0x8005584B
.long 0x924A02FF, 0x00000100
.long 0xD1350054, 0x00009500
.long 0x24A8A882
.long 0xD1000054, 0x013AA977
.long 0x24AA0082
.long 0xD1FE004B, 0x020A0103
.long 0xD100004B, 0x013A9777
.long 0xD1196A01, 0x00010301
.long 0xD1340002, 0x00004D02
.long 0xD1340003, 0x00004903
.long 0xD0C9004A, 0x00003100
.long 0xD0C9004E, 0x00003301
.long 0x86CE4E4A
.long 0xD1FE0056, 0x020A0102
.long 0xD1000056, 0x013AAD77
.long 0xE05C1000, 0x80056456
.long 0x924A02FF, 0x00000100
.long 0xD1350057, 0x00009500
.long 0x24AEAE82
.long 0xD1000057, 0x013AAF77
.long 0x24C00082
.long 0xD1FE0056, 0x020A0103
.long 0xD1000056, 0x013AAD77
.long 0xD1196A01, 0x00010301
.long 0xD1340002, 0x00004D02
	;; [unrolled: 16-line block ×4, first 2 shown]
.long 0xD3D8401A, 0x180001CA
.long 0xD3D8401B, 0x180001CE
	;; [unrolled: 1-line block ×38, first 2 shown]
.long 0xBF800001
.long 0x0A30302C
	;; [unrolled: 1-line block ×42, first 2 shown]
.long 0xD0CC0034, 0x00010042
.long 0xD1000014, 0x00D228F2
.long 0xD1000015, 0x00D22AF2
.long 0xD3B14018, 0x18023114
.long 0xD0CC0034, 0x00010042
.long 0xD1000016, 0x00D22CF2
.long 0xD1000017, 0x00D22EF2
.long 0xD3B1401A, 0x18023516
.long 0xD13B0018, 0x00005B0C
.long 0xD13B0019, 0x00005B0D
.long 0xD13B001A, 0x00005B0E
.long 0xD13B001B, 0x00005B0F
.long 0xD3B24004, 0x18023110
.long 0xD3B24006, 0x18023512
.long 0xBEC81E3E
.long 0x7E300304
.long 0x7E320305
.long 0x7E340306
.long 0x7E360307
.long 0xE07C1000, 0x80041809
.long 0xD0CC0034, 0x00010042
.long 0xD1000014, 0x00D228F2
.long 0xD1000015, 0x00D22AF2
.long 0xD3B14024, 0x18024914
.long 0xD0CC0034, 0x00010042
.long 0xD1000016, 0x00D22CF2
.long 0xD1000017, 0x00D22EF2
.long 0xD3B14026, 0x18024D16
.long 0xD13B0024, 0x00005B20
.long 0xD13B0025, 0x00005B21
.long 0xD13B0026, 0x00005B22
.long 0xD13B0027, 0x00005B23
.long 0xD3B24004, 0x18024910
.long 0xD3B24006, 0x18024D12
.long 0xBEC81E3E
.long 0x7E480304
.long 0x7E4A0305
.long 0x7E4C0306
.long 0x7E4E0307
.long 0xE07C1000, 0x8004241C
	;; [unrolled: 20-line block ×10, first 2 shown]
.long 0xBF800000
.long 0x7E6A02FF, 0x80000000
.long 0xD1196A01, 0x00011B01
.long 0x924A8D26
.long 0xD1340002, 0x00009502
.long 0x924A8D24
.long 0xD1340003, 0x00009503
.long 0xD0C9004A, 0x00003100
.long 0xD0C9004E, 0x00003301
.long 0x86CE4E4A
.long 0xD1FE0009, 0x020A0102
.long 0xD1000009, 0x013A1335
	;; [unrolled: 1-line block ×5, first 2 shown]
.long 0x24141482
.long 0xD100000A, 0x013A1535
.long 0xD9FE0000, 0x1000000A
.long 0x24160082
.long 0xE05C1000, 0x8010140B
.long 0xD1FE0009, 0x020A0103
	;; [unrolled: 1-line block ×8, first 2 shown]
.long 0x86CE4E4A
.long 0xD1FE001C, 0x020A0102
.long 0xD100001C, 0x013A3935
.long 0xE05C1000, 0x8005201C
.long 0x924A02FF, 0x00000100
.long 0xD135001D, 0x00009500
.long 0x243A3A82
.long 0xD100001D, 0x013A3B35
.long 0x243C0082
.long 0xD1FE001C, 0x020A0103
.long 0xD100001C, 0x013A3935
.long 0xD1196A01, 0x00010301
.long 0xD1340002, 0x00004D02
.long 0xD1340003, 0x00004903
.long 0xD0C9004A, 0x00003100
.long 0xD0C9004E, 0x00003301
.long 0x86CE4E4A
.long 0xD1FE001F, 0x020A0102
.long 0xD100001F, 0x013A3F35
.long 0xE05C1000, 0x80052C1F
.long 0x924A02FF, 0x00000100
.long 0xD1350028, 0x00009500
.long 0x24505082
.long 0xD1000028, 0x013A5135
.long 0x24520082
.long 0xD1FE001F, 0x020A0103
.long 0xD100001F, 0x013A3F35
.long 0xD1196A01, 0x00010301
.long 0xD1340002, 0x00004D02
.long 0xD1340003, 0x00004903
.long 0xD0C9004A, 0x00003100
.long 0xD0C9004E, 0x00003301
	;; [unrolled: 16-line block ×3, first 2 shown]
.long 0xD3D84025, 0x180001F5
.long 0xD3D84026, 0x180001F9
	;; [unrolled: 1-line block ×11, first 2 shown]
.long 0xBF800001
.long 0x0A30302C
	;; [unrolled: 1-line block ×18, first 2 shown]
.long 0xD0CC0034, 0x00010042
.long 0xD1000014, 0x00D228F2
.long 0xD1000015, 0x00D22AF2
.long 0xD3B14018, 0x18023114
.long 0xD0CC0034, 0x00010042
.long 0xD1000016, 0x00D22CF2
.long 0xD1000017, 0x00D22EF2
.long 0xD3B1401A, 0x18023516
.long 0xD13B0018, 0x00005B0C
.long 0xD13B0019, 0x00005B0D
.long 0xD13B001A, 0x00005B0E
.long 0xD13B001B, 0x00005B0F
.long 0xD3B24004, 0x18023110
.long 0xD3B24006, 0x18023512
.long 0xBEC81E3E
.long 0x7E300304
.long 0x7E320305
.long 0x7E340306
.long 0x7E360307
.long 0xE07C1000, 0x80041809
.long 0xD0CC0034, 0x00010042
.long 0xD1000014, 0x00D228F2
.long 0xD1000015, 0x00D22AF2
.long 0xD3B14024, 0x18024914
.long 0xD0CC0034, 0x00010042
.long 0xD1000016, 0x00D22CF2
.long 0xD1000017, 0x00D22EF2
.long 0xD3B14026, 0x18024D16
.long 0xD13B0024, 0x00005B20
.long 0xD13B0025, 0x00005B21
.long 0xD13B0026, 0x00005B22
.long 0xD13B0027, 0x00005B23
.long 0xD3B24004, 0x18024910
.long 0xD3B24006, 0x18024D12
.long 0xBEC81E3E
.long 0x7E480304
.long 0x7E4A0305
.long 0x7E4C0306
.long 0x7E4E0307
.long 0xE07C1000, 0x8004241C
	;; [unrolled: 20-line block ×4, first 2 shown]
.long 0xBF800000
.long 0xBF820105
.long 0xBE801D48
.long 0x260808FF, 0x7FFFFFFF
.long 0x260A0AFF, 0x7FFFFFFF
	;; [unrolled: 1-line block ×4, first 2 shown]
.long 0xBE801D48
.long 0xD044006A, 0x00007504
.long 0x1408083B
.long 0x00080880
.long 0xD044006A, 0x00007505
.long 0x140A0A3B
	;; [unrolled: 3-line block ×4, first 2 shown]
.long 0x000E0E80
.long 0xBE801D48
.long 0x0A1008FF, 0x3D372713
.long 0xD1CB0008, 0x03CA1104
.long 0x0A101104
.long 0x0A1010FF, 0x40135761
.long 0x7E104108
.long 0xBF800000
.long 0x021010F2
.long 0x7E104508
.long 0xBF800000
.long 0xD1CB0008, 0x03D210F5
.long 0x0A101104
.long 0x0A0810F0
.long 0x0A100AFF, 0x3D372713
.long 0xD1CB0008, 0x03CA1105
.long 0x0A101105
.long 0x0A1010FF, 0x40135761
.long 0x7E104108
.long 0xBF800000
.long 0x021010F2
.long 0x7E104508
.long 0xBF800000
.long 0xD1CB0008, 0x03D210F5
	;; [unrolled: 12-line block ×4, first 2 shown]
.long 0x0A101107
.long 0x0A0E10F0
	;; [unrolled: 1-line block ×4, first 2 shown]
.long 0xD046006A, 0x00010104
.long 0x00080908
.long 0x0A100A3A
.long 0xD046006A, 0x00010105
.long 0x000A0B08
.long 0x0A100C3A
	;; [unrolled: 3-line block ×4, first 2 shown]
.long 0xD10B0004, 0x00010104
.long 0xD10B0005, 0x00010105
	;; [unrolled: 1-line block ×4, first 2 shown]
.long 0xBE801D48
.long 0x0A0808FF, 0xBFB8AA3B
.long 0x7E084104
.long 0xBF800000
.long 0x020808F2
.long 0x7E084504
.long 0xBF800000
.long 0x0A0A0AFF, 0xBFB8AA3B
.long 0x7E0A4105
.long 0xBF800000
.long 0x020A0AF2
.long 0x7E0A4505
	;; [unrolled: 6-line block ×4, first 2 shown]
.long 0xBF800000
.long 0xBE801D48
	;; [unrolled: 1-line block ×3, first 2 shown]
.long 0x0A0808FF, 0x4038AA3B
.long 0x7E084104
.long 0xBF800000
.long 0x020808F2
.long 0x7E084504
.long 0xBF800000
.long 0xD1CB0004, 0x03CA08F5
.long 0x0A08083B
.long 0x0A0A0A3A
.long 0x0A0A0AFF, 0x4038AA3B
.long 0x7E0A4105
.long 0xBF800000
.long 0x020A0AF2
.long 0x7E0A4505
.long 0xBF800000
.long 0xD1CB0005, 0x03CA0AF5
.long 0x0A0A0A3B
.long 0x0A0C0C3A
	;; [unrolled: 9-line block ×4, first 2 shown]
.long 0x0A1008FF, 0x3D372713
.long 0xD1CB0008, 0x03CA1104
.long 0x0A101104
.long 0x0A1010FF, 0x40135761
.long 0x7E104108
.long 0xBF800000
.long 0x021010F2
.long 0x7E104508
.long 0xBF800000
.long 0xD1CB0008, 0x03D210F5
.long 0x0A101104
.long 0x0A1010F0
.long 0x0A08103A
.long 0x0A100AFF, 0x3D372713
.long 0xD1CB0008, 0x03CA1105
.long 0x0A101105
.long 0x0A1010FF, 0x40135761
.long 0x7E104108
.long 0xBF800000
.long 0x021010F2
.long 0x7E104508
.long 0xBF800000
.long 0xD1CB0008, 0x03D210F5
.long 0x0A101105
.long 0x0A1010F0
.long 0x0A0A103A
	;; [unrolled: 13-line block ×4, first 2 shown]
.long 0xBE801D48
.long 0xBF810000
